;; amdgpu-corpus repo=ROCm/rocFFT kind=compiled arch=gfx1201 opt=O3
	.text
	.amdgcn_target "amdgcn-amd-amdhsa--gfx1201"
	.amdhsa_code_object_version 6
	.protected	fft_rtc_fwd_len715_factors_13_5_11_wgs_195_tpt_65_halfLds_dp_ip_CI_sbrr_dirReg ; -- Begin function fft_rtc_fwd_len715_factors_13_5_11_wgs_195_tpt_65_halfLds_dp_ip_CI_sbrr_dirReg
	.globl	fft_rtc_fwd_len715_factors_13_5_11_wgs_195_tpt_65_halfLds_dp_ip_CI_sbrr_dirReg
	.p2align	8
	.type	fft_rtc_fwd_len715_factors_13_5_11_wgs_195_tpt_65_halfLds_dp_ip_CI_sbrr_dirReg,@function
fft_rtc_fwd_len715_factors_13_5_11_wgs_195_tpt_65_halfLds_dp_ip_CI_sbrr_dirReg: ; @fft_rtc_fwd_len715_factors_13_5_11_wgs_195_tpt_65_halfLds_dp_ip_CI_sbrr_dirReg
; %bb.0:
	s_clause 0x1
	s_load_b64 s[12:13], s[0:1], 0x18
	s_load_b128 s[4:7], s[0:1], 0x0
	v_mul_u32_u24_e32 v1, 0x3f1, v0
	v_mov_b32_e32 v3, 0
	s_load_b64 s[10:11], s[0:1], 0x50
	s_wait_kmcnt 0x0
	s_load_b64 s[8:9], s[12:13], 0x0
	v_lshrrev_b32_e32 v1, 16, v1
	v_cmp_lt_u64_e64 s2, s[6:7], 2
	s_delay_alu instid0(VALU_DEP_2) | instskip(SKIP_2) | instid1(VALU_DEP_4)
	v_mad_co_u64_u32 v[10:11], null, ttmp9, 3, v[1:2]
	v_mov_b32_e32 v1, 0
	v_dual_mov_b32 v2, 0 :: v_dual_mov_b32 v11, v3
	s_and_b32 vcc_lo, exec_lo, s2
	s_delay_alu instid0(VALU_DEP_1)
	v_dual_mov_b32 v7, v10 :: v_dual_mov_b32 v8, v11
	s_cbranch_vccnz .LBB0_8
; %bb.1:
	s_load_b64 s[2:3], s[0:1], 0x10
	v_mov_b32_e32 v1, 0
	v_dual_mov_b32 v2, 0 :: v_dual_mov_b32 v5, v10
	v_mov_b32_e32 v6, v11
	s_add_nc_u64 s[14:15], s[12:13], 8
	s_mov_b64 s[16:17], 1
	s_wait_kmcnt 0x0
	s_add_nc_u64 s[18:19], s[2:3], 8
	s_mov_b32 s3, 0
.LBB0_2:                                ; =>This Inner Loop Header: Depth=1
	s_load_b64 s[20:21], s[18:19], 0x0
                                        ; implicit-def: $vgpr7_vgpr8
	s_mov_b32 s2, exec_lo
	s_wait_kmcnt 0x0
	v_or_b32_e32 v4, s21, v6
	s_delay_alu instid0(VALU_DEP_1)
	v_cmpx_ne_u64_e32 0, v[3:4]
	s_wait_alu 0xfffe
	s_xor_b32 s22, exec_lo, s2
	s_cbranch_execz .LBB0_4
; %bb.3:                                ;   in Loop: Header=BB0_2 Depth=1
	s_cvt_f32_u32 s2, s20
	s_cvt_f32_u32 s23, s21
	s_sub_nc_u64 s[26:27], 0, s[20:21]
	s_wait_alu 0xfffe
	s_delay_alu instid0(SALU_CYCLE_1) | instskip(SKIP_1) | instid1(SALU_CYCLE_2)
	s_fmamk_f32 s2, s23, 0x4f800000, s2
	s_wait_alu 0xfffe
	v_s_rcp_f32 s2, s2
	s_delay_alu instid0(TRANS32_DEP_1) | instskip(SKIP_1) | instid1(SALU_CYCLE_2)
	s_mul_f32 s2, s2, 0x5f7ffffc
	s_wait_alu 0xfffe
	s_mul_f32 s23, s2, 0x2f800000
	s_wait_alu 0xfffe
	s_delay_alu instid0(SALU_CYCLE_2) | instskip(SKIP_1) | instid1(SALU_CYCLE_2)
	s_trunc_f32 s23, s23
	s_wait_alu 0xfffe
	s_fmamk_f32 s2, s23, 0xcf800000, s2
	s_cvt_u32_f32 s25, s23
	s_wait_alu 0xfffe
	s_delay_alu instid0(SALU_CYCLE_1) | instskip(SKIP_1) | instid1(SALU_CYCLE_2)
	s_cvt_u32_f32 s24, s2
	s_wait_alu 0xfffe
	s_mul_u64 s[28:29], s[26:27], s[24:25]
	s_wait_alu 0xfffe
	s_mul_hi_u32 s31, s24, s29
	s_mul_i32 s30, s24, s29
	s_mul_hi_u32 s2, s24, s28
	s_mul_i32 s33, s25, s28
	s_wait_alu 0xfffe
	s_add_nc_u64 s[30:31], s[2:3], s[30:31]
	s_mul_hi_u32 s23, s25, s28
	s_mul_hi_u32 s34, s25, s29
	s_add_co_u32 s2, s30, s33
	s_wait_alu 0xfffe
	s_add_co_ci_u32 s2, s31, s23
	s_mul_i32 s28, s25, s29
	s_add_co_ci_u32 s29, s34, 0
	s_wait_alu 0xfffe
	s_add_nc_u64 s[28:29], s[2:3], s[28:29]
	s_wait_alu 0xfffe
	v_add_co_u32 v4, s2, s24, s28
	s_delay_alu instid0(VALU_DEP_1) | instskip(SKIP_1) | instid1(VALU_DEP_1)
	s_cmp_lg_u32 s2, 0
	s_add_co_ci_u32 s25, s25, s29
	v_readfirstlane_b32 s24, v4
	s_wait_alu 0xfffe
	s_delay_alu instid0(VALU_DEP_1)
	s_mul_u64 s[26:27], s[26:27], s[24:25]
	s_wait_alu 0xfffe
	s_mul_hi_u32 s29, s24, s27
	s_mul_i32 s28, s24, s27
	s_mul_hi_u32 s2, s24, s26
	s_mul_i32 s30, s25, s26
	s_wait_alu 0xfffe
	s_add_nc_u64 s[28:29], s[2:3], s[28:29]
	s_mul_hi_u32 s23, s25, s26
	s_mul_hi_u32 s24, s25, s27
	s_wait_alu 0xfffe
	s_add_co_u32 s2, s28, s30
	s_add_co_ci_u32 s2, s29, s23
	s_mul_i32 s26, s25, s27
	s_add_co_ci_u32 s27, s24, 0
	s_wait_alu 0xfffe
	s_add_nc_u64 s[26:27], s[2:3], s[26:27]
	s_wait_alu 0xfffe
	v_add_co_u32 v4, s2, v4, s26
	s_delay_alu instid0(VALU_DEP_1) | instskip(SKIP_1) | instid1(VALU_DEP_1)
	s_cmp_lg_u32 s2, 0
	s_add_co_ci_u32 s2, s25, s27
	v_mul_hi_u32 v9, v5, v4
	s_wait_alu 0xfffe
	v_mad_co_u64_u32 v[7:8], null, v5, s2, 0
	v_mad_co_u64_u32 v[11:12], null, v6, v4, 0
	;; [unrolled: 1-line block ×3, first 2 shown]
	s_delay_alu instid0(VALU_DEP_3) | instskip(SKIP_1) | instid1(VALU_DEP_4)
	v_add_co_u32 v4, vcc_lo, v9, v7
	s_wait_alu 0xfffd
	v_add_co_ci_u32_e32 v7, vcc_lo, 0, v8, vcc_lo
	s_delay_alu instid0(VALU_DEP_2) | instskip(SKIP_1) | instid1(VALU_DEP_2)
	v_add_co_u32 v4, vcc_lo, v4, v11
	s_wait_alu 0xfffd
	v_add_co_ci_u32_e32 v4, vcc_lo, v7, v12, vcc_lo
	s_wait_alu 0xfffd
	v_add_co_ci_u32_e32 v7, vcc_lo, 0, v14, vcc_lo
	s_delay_alu instid0(VALU_DEP_2) | instskip(SKIP_1) | instid1(VALU_DEP_2)
	v_add_co_u32 v4, vcc_lo, v4, v13
	s_wait_alu 0xfffd
	v_add_co_ci_u32_e32 v9, vcc_lo, 0, v7, vcc_lo
	s_delay_alu instid0(VALU_DEP_2) | instskip(SKIP_1) | instid1(VALU_DEP_3)
	v_mul_lo_u32 v11, s21, v4
	v_mad_co_u64_u32 v[7:8], null, s20, v4, 0
	v_mul_lo_u32 v12, s20, v9
	s_delay_alu instid0(VALU_DEP_2) | instskip(NEXT) | instid1(VALU_DEP_2)
	v_sub_co_u32 v7, vcc_lo, v5, v7
	v_add3_u32 v8, v8, v12, v11
	s_delay_alu instid0(VALU_DEP_1) | instskip(SKIP_1) | instid1(VALU_DEP_1)
	v_sub_nc_u32_e32 v11, v6, v8
	s_wait_alu 0xfffd
	v_subrev_co_ci_u32_e64 v11, s2, s21, v11, vcc_lo
	v_add_co_u32 v12, s2, v4, 2
	s_wait_alu 0xf1ff
	v_add_co_ci_u32_e64 v13, s2, 0, v9, s2
	v_sub_co_u32 v14, s2, v7, s20
	v_sub_co_ci_u32_e32 v8, vcc_lo, v6, v8, vcc_lo
	s_wait_alu 0xf1ff
	v_subrev_co_ci_u32_e64 v11, s2, 0, v11, s2
	s_delay_alu instid0(VALU_DEP_3) | instskip(NEXT) | instid1(VALU_DEP_3)
	v_cmp_le_u32_e32 vcc_lo, s20, v14
	v_cmp_eq_u32_e64 s2, s21, v8
	s_wait_alu 0xfffd
	v_cndmask_b32_e64 v14, 0, -1, vcc_lo
	v_cmp_le_u32_e32 vcc_lo, s21, v11
	s_wait_alu 0xfffd
	v_cndmask_b32_e64 v15, 0, -1, vcc_lo
	v_cmp_le_u32_e32 vcc_lo, s20, v7
	;; [unrolled: 3-line block ×3, first 2 shown]
	s_wait_alu 0xfffd
	v_cndmask_b32_e64 v16, 0, -1, vcc_lo
	v_cmp_eq_u32_e32 vcc_lo, s21, v11
	s_wait_alu 0xf1ff
	s_delay_alu instid0(VALU_DEP_2)
	v_cndmask_b32_e64 v7, v16, v7, s2
	s_wait_alu 0xfffd
	v_cndmask_b32_e32 v11, v15, v14, vcc_lo
	v_add_co_u32 v14, vcc_lo, v4, 1
	s_wait_alu 0xfffd
	v_add_co_ci_u32_e32 v15, vcc_lo, 0, v9, vcc_lo
	s_delay_alu instid0(VALU_DEP_3) | instskip(SKIP_1) | instid1(VALU_DEP_2)
	v_cmp_ne_u32_e32 vcc_lo, 0, v11
	s_wait_alu 0xfffd
	v_dual_cndmask_b32 v8, v15, v13 :: v_dual_cndmask_b32 v11, v14, v12
	v_cmp_ne_u32_e32 vcc_lo, 0, v7
	s_wait_alu 0xfffd
	s_delay_alu instid0(VALU_DEP_2)
	v_dual_cndmask_b32 v8, v9, v8 :: v_dual_cndmask_b32 v7, v4, v11
.LBB0_4:                                ;   in Loop: Header=BB0_2 Depth=1
	s_wait_alu 0xfffe
	s_and_not1_saveexec_b32 s2, s22
	s_cbranch_execz .LBB0_6
; %bb.5:                                ;   in Loop: Header=BB0_2 Depth=1
	v_cvt_f32_u32_e32 v4, s20
	s_sub_co_i32 s22, 0, s20
	s_delay_alu instid0(VALU_DEP_1) | instskip(NEXT) | instid1(TRANS32_DEP_1)
	v_rcp_iflag_f32_e32 v4, v4
	v_mul_f32_e32 v4, 0x4f7ffffe, v4
	s_delay_alu instid0(VALU_DEP_1) | instskip(SKIP_1) | instid1(VALU_DEP_1)
	v_cvt_u32_f32_e32 v4, v4
	s_wait_alu 0xfffe
	v_mul_lo_u32 v7, s22, v4
	s_delay_alu instid0(VALU_DEP_1) | instskip(NEXT) | instid1(VALU_DEP_1)
	v_mul_hi_u32 v7, v4, v7
	v_add_nc_u32_e32 v4, v4, v7
	s_delay_alu instid0(VALU_DEP_1) | instskip(NEXT) | instid1(VALU_DEP_1)
	v_mul_hi_u32 v4, v5, v4
	v_mul_lo_u32 v7, v4, s20
	v_add_nc_u32_e32 v8, 1, v4
	s_delay_alu instid0(VALU_DEP_2) | instskip(NEXT) | instid1(VALU_DEP_1)
	v_sub_nc_u32_e32 v7, v5, v7
	v_subrev_nc_u32_e32 v9, s20, v7
	v_cmp_le_u32_e32 vcc_lo, s20, v7
	s_wait_alu 0xfffd
	s_delay_alu instid0(VALU_DEP_2) | instskip(NEXT) | instid1(VALU_DEP_1)
	v_dual_cndmask_b32 v7, v7, v9 :: v_dual_cndmask_b32 v4, v4, v8
	v_cmp_le_u32_e32 vcc_lo, s20, v7
	s_delay_alu instid0(VALU_DEP_2) | instskip(SKIP_1) | instid1(VALU_DEP_1)
	v_add_nc_u32_e32 v8, 1, v4
	s_wait_alu 0xfffd
	v_dual_cndmask_b32 v7, v4, v8 :: v_dual_mov_b32 v8, v3
.LBB0_6:                                ;   in Loop: Header=BB0_2 Depth=1
	s_wait_alu 0xfffe
	s_or_b32 exec_lo, exec_lo, s2
	s_load_b64 s[22:23], s[14:15], 0x0
	s_delay_alu instid0(VALU_DEP_1)
	v_mul_lo_u32 v4, v8, s20
	v_mul_lo_u32 v9, v7, s21
	v_mad_co_u64_u32 v[11:12], null, v7, s20, 0
	s_add_nc_u64 s[16:17], s[16:17], 1
	s_add_nc_u64 s[14:15], s[14:15], 8
	s_wait_alu 0xfffe
	v_cmp_ge_u64_e64 s2, s[16:17], s[6:7]
	s_add_nc_u64 s[18:19], s[18:19], 8
	s_delay_alu instid0(VALU_DEP_2) | instskip(NEXT) | instid1(VALU_DEP_3)
	v_add3_u32 v4, v12, v9, v4
	v_sub_co_u32 v5, vcc_lo, v5, v11
	s_wait_alu 0xfffd
	s_delay_alu instid0(VALU_DEP_2) | instskip(SKIP_3) | instid1(VALU_DEP_2)
	v_sub_co_ci_u32_e32 v4, vcc_lo, v6, v4, vcc_lo
	s_and_b32 vcc_lo, exec_lo, s2
	s_wait_kmcnt 0x0
	v_mul_lo_u32 v6, s23, v5
	v_mul_lo_u32 v4, s22, v4
	v_mad_co_u64_u32 v[1:2], null, s22, v5, v[1:2]
	s_delay_alu instid0(VALU_DEP_1)
	v_add3_u32 v2, v6, v2, v4
	s_wait_alu 0xfffe
	s_cbranch_vccnz .LBB0_8
; %bb.7:                                ;   in Loop: Header=BB0_2 Depth=1
	v_dual_mov_b32 v5, v7 :: v_dual_mov_b32 v6, v8
	s_branch .LBB0_2
.LBB0_8:
	s_lshl_b64 s[2:3], s[6:7], 3
	v_mul_hi_u32 v3, 0x3f03f04, v0
	s_wait_alu 0xfffe
	s_add_nc_u64 s[2:3], s[12:13], s[2:3]
	v_mov_b32_e32 v126, 0
	s_load_b64 s[2:3], s[2:3], 0x0
	s_load_b64 s[0:1], s[0:1], 0x20
                                        ; implicit-def: $vgpr14_vgpr15
                                        ; implicit-def: $vgpr18_vgpr19
                                        ; implicit-def: $vgpr22_vgpr23
                                        ; implicit-def: $vgpr30_vgpr31
                                        ; implicit-def: $vgpr46_vgpr47
                                        ; implicit-def: $vgpr50_vgpr51
                                        ; implicit-def: $vgpr58_vgpr59
                                        ; implicit-def: $vgpr42_vgpr43
                                        ; implicit-def: $vgpr54_vgpr55
                                        ; implicit-def: $vgpr38_vgpr39
                                        ; implicit-def: $vgpr34_vgpr35
                                        ; implicit-def: $vgpr26_vgpr27
	s_wait_kmcnt 0x0
	v_mul_lo_u32 v4, s2, v8
	v_mul_lo_u32 v5, s3, v7
	v_mad_co_u64_u32 v[80:81], null, s2, v7, v[1:2]
	v_mul_u32_u24_e32 v1, 0x41, v3
	v_cmp_gt_u64_e32 vcc_lo, s[0:1], v[7:8]
                                        ; implicit-def: $vgpr6_vgpr7
	s_delay_alu instid0(VALU_DEP_2) | instskip(NEXT) | instid1(VALU_DEP_4)
	v_sub_nc_u32_e32 v127, v0, v1
	v_add3_u32 v81, v5, v81, v4
	s_and_saveexec_b32 s1, vcc_lo
	s_cbranch_execz .LBB0_12
; %bb.9:
	s_mov_b32 s2, exec_lo
                                        ; implicit-def: $vgpr4_vgpr5
                                        ; implicit-def: $vgpr24_vgpr25
                                        ; implicit-def: $vgpr32_vgpr33
                                        ; implicit-def: $vgpr36_vgpr37
                                        ; implicit-def: $vgpr52_vgpr53
                                        ; implicit-def: $vgpr40_vgpr41
                                        ; implicit-def: $vgpr56_vgpr57
                                        ; implicit-def: $vgpr48_vgpr49
                                        ; implicit-def: $vgpr44_vgpr45
                                        ; implicit-def: $vgpr28_vgpr29
                                        ; implicit-def: $vgpr20_vgpr21
                                        ; implicit-def: $vgpr16_vgpr17
                                        ; implicit-def: $vgpr12_vgpr13
	v_cmpx_gt_u32_e32 55, v127
	s_cbranch_execz .LBB0_11
; %bb.10:
	v_add_nc_u32_e32 v14, 0x6e, v127
	v_lshlrev_b64_e32 v[4:5], 4, v[80:81]
	v_mad_co_u64_u32 v[0:1], null, s8, v127, 0
	v_add_nc_u32_e32 v15, 0xa5, v127
	s_delay_alu instid0(VALU_DEP_4) | instskip(SKIP_4) | instid1(VALU_DEP_4)
	v_mad_co_u64_u32 v[8:9], null, s8, v14, 0
	v_add_nc_u32_e32 v11, 55, v127
	v_add_co_u32 v22, s0, s10, v4
	s_wait_alu 0xf1ff
	v_add_co_ci_u32_e64 v23, s0, s11, v5, s0
	v_dual_mov_b32 v4, v9 :: v_dual_add_nc_u32 v21, 0x226, v127
	v_mad_co_u64_u32 v[2:3], null, s8, v11, 0
	v_add_nc_u32_e32 v29, 0x294, v127
	v_add_nc_u32_e32 v18, 0x113, v127
	;; [unrolled: 1-line block ×4, first 2 shown]
	v_mad_co_u64_u32 v[6:7], null, s9, v127, v[1:2]
	v_dual_mov_b32 v1, v3 :: v_dual_add_nc_u32 v16, 0xdc, v127
	s_delay_alu instid0(VALU_DEP_1) | instskip(NEXT) | instid1(VALU_DEP_3)
	v_mad_co_u64_u32 v[11:12], null, s9, v11, v[1:2]
	v_mov_b32_e32 v1, v6
	v_mad_co_u64_u32 v[12:13], null, s8, v15, 0
	s_delay_alu instid0(VALU_DEP_2) | instskip(NEXT) | instid1(VALU_DEP_4)
	v_lshlrev_b64_e32 v[0:1], 4, v[0:1]
	v_mov_b32_e32 v3, v11
	s_delay_alu instid0(VALU_DEP_3) | instskip(NEXT) | instid1(VALU_DEP_2)
	v_mov_b32_e32 v5, v13
	v_lshlrev_b64_e32 v[2:3], 4, v[2:3]
	s_delay_alu instid0(VALU_DEP_4) | instskip(NEXT) | instid1(VALU_DEP_3)
	v_add_co_u32 v0, s0, v22, v0
	v_mad_co_u64_u32 v[6:7], null, s9, v14, v[4:5]
	s_wait_alu 0xf1ff
	v_add_co_ci_u32_e64 v1, s0, v23, v1, s0
	s_delay_alu instid0(VALU_DEP_4) | instskip(SKIP_2) | instid1(VALU_DEP_4)
	v_add_co_u32 v2, s0, v22, v2
	s_wait_alu 0xf1ff
	v_add_co_ci_u32_e64 v3, s0, v23, v3, s0
	v_mad_co_u64_u32 v[13:14], null, s9, v15, v[5:6]
	v_mov_b32_e32 v9, v6
	s_clause 0x1
	global_load_b128 v[4:7], v[0:1], off
	global_load_b128 v[24:27], v[2:3], off
	v_mad_co_u64_u32 v[14:15], null, s8, v16, 0
	v_lshlrev_b64_e32 v[0:1], 4, v[8:9]
	v_mad_co_u64_u32 v[8:9], null, s8, v18, 0
	v_lshlrev_b64_e32 v[11:12], 4, v[12:13]
	s_delay_alu instid0(VALU_DEP_4) | instskip(NEXT) | instid1(VALU_DEP_4)
	v_dual_mov_b32 v2, v15 :: v_dual_add_nc_u32 v13, 0x14a, v127
	v_add_co_u32 v0, s0, v22, v0
	s_wait_alu 0xf1ff
	v_add_co_ci_u32_e64 v1, s0, v23, v1, s0
	s_delay_alu instid0(VALU_DEP_3)
	v_mad_co_u64_u32 v[2:3], null, s9, v16, v[2:3]
	v_mov_b32_e32 v3, v9
	v_mad_co_u64_u32 v[16:17], null, s8, v13, 0
	v_add_co_u32 v11, s0, v22, v11
	s_wait_alu 0xf1ff
	v_add_co_ci_u32_e64 v12, s0, v23, v12, s0
	v_mov_b32_e32 v15, v2
	s_clause 0x1
	global_load_b128 v[32:35], v[0:1], off
	global_load_b128 v[36:39], v[11:12], off
	v_lshlrev_b64_e32 v[0:1], 4, v[14:15]
	s_delay_alu instid0(VALU_DEP_1) | instskip(SKIP_1) | instid1(VALU_DEP_2)
	v_add_co_u32 v0, s0, v22, v0
	s_wait_alu 0xf1ff
	v_add_co_ci_u32_e64 v1, s0, v23, v1, s0
	s_wait_loadcnt 0x3
	v_mad_co_u64_u32 v[2:3], null, s9, v18, v[3:4]
	v_mad_co_u64_u32 v[18:19], null, s8, v20, 0
	v_mov_b32_e32 v3, v17
	s_delay_alu instid0(VALU_DEP_3) | instskip(NEXT) | instid1(VALU_DEP_2)
	v_mov_b32_e32 v9, v2
	v_mad_co_u64_u32 v[11:12], null, s9, v13, v[3:4]
	s_delay_alu instid0(VALU_DEP_4) | instskip(NEXT) | instid1(VALU_DEP_3)
	v_mov_b32_e32 v2, v19
	v_lshlrev_b64_e32 v[8:9], 4, v[8:9]
	s_delay_alu instid0(VALU_DEP_2) | instskip(SKIP_2) | instid1(VALU_DEP_4)
	v_mad_co_u64_u32 v[2:3], null, s9, v20, v[2:3]
	v_add_nc_u32_e32 v3, 0x1b8, v127
	v_mov_b32_e32 v17, v11
	v_add_co_u32 v8, s0, v22, v8
	s_wait_alu 0xf1ff
	v_add_co_ci_u32_e64 v9, s0, v23, v9, s0
	v_mad_co_u64_u32 v[13:14], null, s8, v3, 0
	v_mov_b32_e32 v19, v2
	v_lshlrev_b64_e32 v[11:12], 4, v[16:17]
	s_clause 0x1
	global_load_b128 v[52:55], v[0:1], off
	global_load_b128 v[40:43], v[8:9], off
	v_mad_co_u64_u32 v[15:16], null, s8, v21, 0
	v_lshlrev_b64_e32 v[8:9], 4, v[18:19]
	v_dual_mov_b32 v2, v14 :: v_dual_add_nc_u32 v19, 0x1ef, v127
	v_add_co_u32 v0, s0, v22, v11
	s_wait_alu 0xf1ff
	v_add_co_ci_u32_e64 v1, s0, v23, v12, s0
	s_delay_alu instid0(VALU_DEP_3)
	v_mad_co_u64_u32 v[2:3], null, s9, v3, v[2:3]
	v_mad_co_u64_u32 v[11:12], null, s8, v19, 0
	v_mov_b32_e32 v3, v16
	v_mad_co_u64_u32 v[17:18], null, s8, v28, 0
	v_add_co_u32 v8, s0, v22, v8
	v_mov_b32_e32 v14, v2
	v_mov_b32_e32 v2, v12
	s_wait_alu 0xf1ff
	v_add_co_ci_u32_e64 v9, s0, v23, v9, s0
	s_clause 0x1
	global_load_b128 v[56:59], v[0:1], off
	global_load_b128 v[48:51], v[8:9], off
	v_mad_co_u64_u32 v[19:20], null, s9, v19, v[2:3]
	v_mad_co_u64_u32 v[2:3], null, s9, v21, v[3:4]
	v_mad_co_u64_u32 v[20:21], null, s8, v29, 0
	v_mov_b32_e32 v0, v18
	v_lshlrev_b64_e32 v[8:9], 4, v[13:14]
	v_mov_b32_e32 v12, v19
	v_mov_b32_e32 v16, v2
	s_delay_alu instid0(VALU_DEP_4)
	v_mad_co_u64_u32 v[0:1], null, s9, v28, v[0:1]
	v_mov_b32_e32 v1, v21
	v_add_co_u32 v2, s0, v22, v8
	s_wait_alu 0xf1ff
	v_add_co_ci_u32_e64 v3, s0, v23, v9, s0
	v_lshlrev_b64_e32 v[8:9], 4, v[11:12]
	v_mov_b32_e32 v18, v0
	v_mad_co_u64_u32 v[11:12], null, s9, v29, v[1:2]
	v_lshlrev_b64_e32 v[12:13], 4, v[15:16]
	s_delay_alu instid0(VALU_DEP_4) | instskip(SKIP_2) | instid1(VALU_DEP_4)
	v_add_co_u32 v0, s0, v22, v8
	s_wait_alu 0xf1ff
	v_add_co_ci_u32_e64 v1, s0, v23, v9, s0
	v_mov_b32_e32 v21, v11
	v_lshlrev_b64_e32 v[8:9], 4, v[17:18]
	v_add_co_u32 v11, s0, v22, v12
	s_wait_alu 0xf1ff
	v_add_co_ci_u32_e64 v12, s0, v23, v13, s0
	v_lshlrev_b64_e32 v[13:14], 4, v[20:21]
	s_delay_alu instid0(VALU_DEP_4) | instskip(SKIP_2) | instid1(VALU_DEP_3)
	v_add_co_u32 v8, s0, v22, v8
	s_wait_alu 0xf1ff
	v_add_co_ci_u32_e64 v9, s0, v23, v9, s0
	v_add_co_u32 v13, s0, v22, v13
	s_wait_alu 0xf1ff
	v_add_co_ci_u32_e64 v14, s0, v23, v14, s0
	s_clause 0x4
	global_load_b128 v[44:47], v[2:3], off
	global_load_b128 v[28:31], v[0:1], off
	global_load_b128 v[20:23], v[11:12], off
	global_load_b128 v[16:19], v[8:9], off
	global_load_b128 v[12:15], v[13:14], off
.LBB0_11:
	s_wait_alu 0xfffe
	s_or_b32 exec_lo, exec_lo, s2
	v_mov_b32_e32 v126, v127
.LBB0_12:
	s_wait_alu 0xfffe
	s_or_b32 exec_lo, exec_lo, s1
	s_wait_loadcnt 0x0
	v_add_f64_e32 v[60:61], v[12:13], v[24:25]
	s_mov_b32 s2, 0x1ea71119
	s_mov_b32 s6, 0xebaa3ed8
	;; [unrolled: 1-line block ×6, first 2 shown]
	v_add_f64_e64 v[62:63], v[26:27], -v[14:15]
	v_add_f64_e32 v[64:65], v[16:17], v[32:33]
	s_mov_b32 s20, 0x42a4c3d2
	s_mov_b32 s14, 0xb2365da1
	;; [unrolled: 1-line block ×10, first 2 shown]
	v_add_f64_e64 v[120:121], v[34:35], -v[18:19]
	v_add_f64_e32 v[88:89], v[20:21], v[36:37]
	s_mov_b32 s18, 0x2ef20147
	s_mov_b32 s19, 0xbfedeba7
	s_mov_b32 s23, 0xbfcea1e5
	s_mov_b32 s22, 0x4bc48dbf
	v_add_f64_e64 v[118:119], v[38:39], -v[22:23]
	v_add_f64_e32 v[70:71], v[28:29], v[52:53]
	s_mov_b32 s34, 0xd0032e0c
	s_mov_b32 s41, 0x3fedeba7
	s_mov_b32 s35, 0xbfe7f3cc
	s_mov_b32 s40, s18
	;; [unrolled: 6-line block ×3, first 2 shown]
	v_add_f64_e64 v[106:107], v[42:43], -v[46:47]
	s_wait_alu 0xfffe
	v_mul_f64_e32 v[72:73], s[2:3], v[60:61]
	v_mul_f64_e32 v[76:77], s[6:7], v[60:61]
	;; [unrolled: 1-line block ×3, first 2 shown]
	s_mov_b32 s29, 0x3fefc445
	s_mov_b32 s31, 0xbfe5384d
	;; [unrolled: 1-line block ×4, first 2 shown]
	v_mul_hi_u32 v11, 0xaaaaaaab, v10
	v_mul_f64_e32 v[108:109], s[14:15], v[64:65]
	v_mul_f64_e32 v[110:111], s[16:17], v[64:65]
	;; [unrolled: 1-line block ×3, first 2 shown]
	v_cmp_gt_u32_e64 s1, 55, v127
	v_lshrrev_b32_e32 v11, 1, v11
	v_mul_f64_e32 v[100:101], s[16:17], v[88:89]
	v_mul_f64_e32 v[102:103], s[14:15], v[88:89]
	;; [unrolled: 1-line block ×3, first 2 shown]
	s_delay_alu instid0(VALU_DEP_4) | instskip(SKIP_3) | instid1(VALU_DEP_4)
	v_lshl_add_u32 v11, v11, 1, v11
	v_mul_f64_e32 v[92:93], s[34:35], v[70:71]
	v_mul_f64_e32 v[94:95], s[12:13], v[70:71]
	;; [unrolled: 1-line block ×3, first 2 shown]
	v_sub_nc_u32_e32 v10, v10, v11
	v_mul_f64_e32 v[84:85], s[6:7], v[68:69]
	v_mul_f64_e32 v[90:91], s[2:3], v[68:69]
	;; [unrolled: 1-line block ×3, first 2 shown]
	s_delay_alu instid0(VALU_DEP_4)
	v_mul_u32_u24_e32 v10, 0x2cb, v10
	v_fma_f64 v[0:1], v[62:63], s[20:21], v[72:73]
	v_fma_f64 v[2:3], v[62:63], s[26:27], v[76:77]
	;; [unrolled: 1-line block ×14, first 2 shown]
	v_add_f64_e32 v[0:1], v[4:5], v[0:1]
	v_add_f64_e32 v[2:3], v[4:5], v[2:3]
	v_add_f64_e32 v[8:9], v[4:5], v[8:9]
	s_delay_alu instid0(VALU_DEP_3) | instskip(NEXT) | instid1(VALU_DEP_3)
	v_add_f64_e32 v[0:1], v[66:67], v[0:1]
	v_add_f64_e32 v[2:3], v[74:75], v[2:3]
	s_delay_alu instid0(VALU_DEP_3) | instskip(SKIP_1) | instid1(VALU_DEP_4)
	v_add_f64_e32 v[8:9], v[78:79], v[8:9]
	v_add_f64_e32 v[66:67], v[48:49], v[56:57]
	;; [unrolled: 1-line block ×3, first 2 shown]
	s_delay_alu instid0(VALU_DEP_4) | instskip(NEXT) | instid1(VALU_DEP_4)
	v_add_f64_e32 v[2:3], v[98:99], v[2:3]
	v_add_f64_e32 v[8:9], v[122:123], v[8:9]
	v_add_f64_e64 v[98:99], v[58:59], -v[50:51]
	v_mul_f64_e32 v[74:75], s[12:13], v[66:67]
	v_mul_f64_e32 v[78:79], s[34:35], v[66:67]
	;; [unrolled: 1-line block ×3, first 2 shown]
	s_wait_alu 0xfffe
	v_fma_f64 v[122:123], v[106:107], s[28:29], v[84:85]
	v_add_f64_e32 v[0:1], v[124:125], v[0:1]
	v_add_f64_e32 v[2:3], v[128:129], v[2:3]
	;; [unrolled: 1-line block ×3, first 2 shown]
	v_fma_f64 v[124:125], v[98:99], s[24:25], v[74:75]
	v_fma_f64 v[128:129], v[98:99], s[30:31], v[78:79]
	;; [unrolled: 1-line block ×3, first 2 shown]
	v_add_f64_e32 v[0:1], v[122:123], v[0:1]
	v_add_f64_e32 v[122:123], v[132:133], v[2:3]
	;; [unrolled: 1-line block ×3, first 2 shown]
	s_delay_alu instid0(VALU_DEP_3) | instskip(NEXT) | instid1(VALU_DEP_3)
	v_add_f64_e32 v[2:3], v[124:125], v[0:1]
	v_add_f64_e32 v[0:1], v[128:129], v[122:123]
	s_delay_alu instid0(VALU_DEP_3)
	v_add_f64_e32 v[8:9], v[130:131], v[8:9]
	v_lshlrev_b32_e32 v129, 3, v10
	s_and_saveexec_b32 s0, s1
	s_cbranch_execz .LBB0_14
; %bb.13:
	v_add_f64_e32 v[10:11], v[24:25], v[4:5]
	v_mul_f64_e32 v[122:123], s[22:23], v[62:63]
	v_mul_f64_e32 v[124:125], s[30:31], v[62:63]
	;; [unrolled: 1-line block ×13, first 2 shown]
	v_add_f64_e32 v[10:11], v[32:33], v[10:11]
	v_fma_f64 v[146:147], v[60:61], s[16:17], v[122:123]
	v_fma_f64 v[122:123], v[60:61], s[16:17], -v[122:123]
	v_fma_f64 v[148:149], v[60:61], s[34:35], v[124:125]
	v_fma_f64 v[124:125], v[60:61], s[34:35], -v[124:125]
	v_fma_f64 v[150:151], v[60:61], s[14:15], -v[130:131]
	v_fma_f64 v[60:61], v[60:61], s[14:15], v[130:131]
	v_add_f64_e64 v[76:77], v[76:77], -v[132:133]
	v_add_f64_e64 v[116:117], v[116:117], -v[134:135]
	;; [unrolled: 1-line block ×3, first 2 shown]
	v_mul_f64_e32 v[72:73], s[30:31], v[118:119]
	v_mul_f64_e32 v[130:131], s[20:21], v[118:119]
	;; [unrolled: 1-line block ×5, first 2 shown]
	v_fma_f64 v[154:155], v[64:65], s[12:13], v[136:137]
	v_fma_f64 v[136:137], v[64:65], s[12:13], -v[136:137]
	v_fma_f64 v[156:157], v[64:65], s[6:7], v[138:139]
	v_fma_f64 v[138:139], v[64:65], s[6:7], -v[138:139]
	;; [unrolled: 2-line block ×3, first 2 shown]
	v_add_f64_e64 v[110:111], v[110:111], -v[142:143]
	v_add_f64_e64 v[112:113], v[112:113], -v[120:121]
	;; [unrolled: 1-line block ×3, first 2 shown]
	v_mul_f64_e32 v[144:145], s[36:37], v[114:115]
	s_mov_b32 s37, 0x3fea55e2
	s_mov_b32 s36, s20
	v_add_f64_e64 v[100:101], v[100:101], -v[152:153]
	s_wait_alu 0xfffe
	v_mul_f64_e32 v[160:161], s[36:37], v[114:115]
	v_add_f64_e32 v[10:11], v[36:37], v[10:11]
	v_add_f64_e32 v[120:121], v[4:5], v[146:147]
	;; [unrolled: 1-line block ×10, first 2 shown]
	v_mul_f64_e32 v[148:149], s[22:23], v[98:99]
	s_mov_b32 s23, 0x3fcea1e5
	v_mul_f64_e32 v[62:63], s[24:25], v[114:115]
	v_mul_f64_e32 v[146:147], s[18:19], v[114:115]
	;; [unrolled: 1-line block ×3, first 2 shown]
	s_wait_alu 0xfffe
	v_mul_f64_e32 v[114:115], s[22:23], v[114:115]
	v_fma_f64 v[162:163], v[88:89], s[34:35], v[72:73]
	v_fma_f64 v[72:73], v[88:89], s[34:35], -v[72:73]
	v_fma_f64 v[164:165], v[88:89], s[2:3], v[130:131]
	v_fma_f64 v[130:131], v[88:89], s[2:3], -v[130:131]
	;; [unrolled: 2-line block ×3, first 2 shown]
	v_add_f64_e64 v[104:105], v[104:105], -v[118:119]
	v_add_f64_e64 v[102:103], v[102:103], -v[134:135]
	v_mul_f64_e32 v[132:133], s[24:25], v[106:107]
	v_mul_f64_e32 v[134:135], s[30:31], v[106:107]
	v_add_f64_e64 v[92:93], v[92:93], -v[144:145]
	v_add_f64_e32 v[10:11], v[52:53], v[10:11]
	v_add_f64_e32 v[118:119], v[154:155], v[120:121]
	;; [unrolled: 1-line block ×10, first 2 shown]
	v_mul_f64_e32 v[108:109], s[20:21], v[106:107]
	v_mul_f64_e32 v[112:113], s[18:19], v[106:107]
	;; [unrolled: 1-line block ×4, first 2 shown]
	v_add_f64_e64 v[62:63], v[94:95], -v[62:63]
	v_add_f64_e64 v[94:95], v[96:97], -v[146:147]
	v_fma_f64 v[96:97], v[70:71], s[6:7], v[150:151]
	v_fma_f64 v[136:137], v[70:71], s[6:7], -v[150:151]
	v_fma_f64 v[138:139], v[70:71], s[2:3], v[160:161]
	v_fma_f64 v[140:141], v[70:71], s[2:3], -v[160:161]
	;; [unrolled: 2-line block ×3, first 2 shown]
	v_add_f64_e64 v[82:83], v[82:83], -v[148:149]
	v_add_f64_e64 v[86:87], v[86:87], -v[134:135]
	v_add_f64_e32 v[10:11], v[40:41], v[10:11]
	v_add_f64_e32 v[114:115], v[162:163], v[118:119]
	;; [unrolled: 1-line block ×10, first 2 shown]
	v_mul_f64_e32 v[100:101], s[24:25], v[98:99]
	v_mul_f64_e32 v[102:103], s[30:31], v[98:99]
	;; [unrolled: 1-line block ×5, first 2 shown]
	v_add_f64_e64 v[90:91], v[90:91], -v[108:109]
	v_fma_f64 v[108:109], v[68:69], s[14:15], v[112:113]
	v_fma_f64 v[112:113], v[68:69], s[14:15], -v[112:113]
	v_add_f64_e64 v[84:85], v[84:85], -v[116:117]
	v_fma_f64 v[116:117], v[68:69], s[12:13], v[132:133]
	v_fma_f64 v[122:123], v[68:69], s[12:13], -v[132:133]
	v_fma_f64 v[124:125], v[68:69], s[16:17], v[106:107]
	v_fma_f64 v[68:69], v[68:69], s[16:17], -v[106:107]
	v_add_f64_e32 v[10:11], v[56:57], v[10:11]
	v_add_f64_e32 v[106:107], v[138:139], v[114:115]
	;; [unrolled: 1-line block ×10, first 2 shown]
	v_add_f64_e64 v[74:75], v[74:75], -v[100:101]
	v_add_f64_e64 v[78:79], v[78:79], -v[102:103]
	v_fma_f64 v[88:89], v[66:67], s[6:7], v[104:105]
	v_fma_f64 v[92:93], v[66:67], s[6:7], -v[104:105]
	v_fma_f64 v[94:95], v[66:67], s[14:15], v[110:111]
	v_fma_f64 v[96:97], v[66:67], s[14:15], -v[110:111]
	;; [unrolled: 2-line block ×3, first 2 shown]
	v_add_f64_e32 v[10:11], v[48:49], v[10:11]
	v_add_f64_e32 v[98:99], v[108:109], v[106:107]
	;; [unrolled: 1-line block ×20, first 2 shown]
	v_mul_u32_u24_e32 v68, 0x68, v127
	s_delay_alu instid0(VALU_DEP_1) | instskip(SKIP_1) | instid1(VALU_DEP_1)
	v_add3_u32 v68, 0, v68, v129
	v_add_f64_e32 v[10:11], v[28:29], v[10:11]
	v_add_f64_e32 v[10:11], v[20:21], v[10:11]
	s_delay_alu instid0(VALU_DEP_1) | instskip(NEXT) | instid1(VALU_DEP_1)
	v_add_f64_e32 v[10:11], v[16:17], v[10:11]
	v_add_f64_e32 v[10:11], v[12:13], v[10:11]
	ds_store_2addr_b64 v68, v[64:65], v[70:71] offset0:4 offset1:5
	ds_store_2addr_b64 v68, v[72:73], v[76:77] offset0:6 offset1:7
	;; [unrolled: 1-line block ×4, first 2 shown]
	ds_store_2addr_b64 v68, v[10:11], v[66:67] offset1:1
	ds_store_2addr_b64 v68, v[4:5], v[62:63] offset0:2 offset1:3
	ds_store_b64 v68, v[8:9] offset:96
.LBB0_14:
	s_wait_alu 0xfffe
	s_or_b32 exec_lo, exec_lo, s0
	v_lshlrev_b32_e32 v10, 3, v127
	global_wb scope:SCOPE_SE
	s_wait_dscnt 0x0
	s_barrier_signal -1
	s_barrier_wait -1
	global_inv scope:SCOPE_SE
	v_add_nc_u32_e32 v131, 0, v10
	v_add3_u32 v128, 0, v129, v10
	v_cmp_gt_u32_e64 s0, 13, v127
                                        ; implicit-def: $vgpr82_vgpr83
	s_delay_alu instid0(VALU_DEP_3) | instskip(NEXT) | instid1(VALU_DEP_1)
	v_add_nc_u32_e32 v130, v131, v129
	v_add_nc_u32_e32 v4, 0x400, v130
	;; [unrolled: 1-line block ×4, first 2 shown]
	ds_load_2addr_b64 v[64:67], v130 offset0:65 offset1:143
	ds_load_2addr_b64 v[68:71], v4 offset0:80 offset1:158
	;; [unrolled: 1-line block ×4, first 2 shown]
	ds_load_b64 v[84:85], v128
	ds_load_b64 v[86:87], v130 offset:5096
	s_and_saveexec_b32 s2, s0
	s_cbranch_execz .LBB0_16
; %bb.15:
	ds_load_2addr_b64 v[0:3], v4 offset0:2 offset1:145
	ds_load_2addr_b64 v[8:11], v5 offset0:32 offset1:175
	ds_load_b64 v[82:83], v130 offset:5616
.LBB0_16:
	s_wait_alu 0xfffe
	s_or_b32 exec_lo, exec_lo, s2
	v_add_f64_e64 v[108:109], v[24:25], -v[12:13]
	s_mov_b32 s28, 0x66966769
	s_mov_b32 s21, 0xbfddbe06
	s_mov_b32 s20, 0x4267c47c
	s_mov_b32 s13, 0xbfea55e2
	s_mov_b32 s12, 0x42a4c3d2
	s_mov_b32 s29, 0xbfefc445
	v_add_f64_e32 v[88:89], v[14:15], v[26:27]
	v_add_f64_e64 v[114:115], v[32:33], -v[16:17]
	s_mov_b32 s14, 0xe00740e9
	s_mov_b32 s2, 0x1ea71119
	s_mov_b32 s15, 0x3fec55a7
	s_mov_b32 s3, 0x3fe22d96
	s_mov_b32 s25, 0xbfcea1e5
	s_mov_b32 s24, 0x4bc48dbf
	v_add_f64_e32 v[92:93], v[18:19], v[34:35]
	;; [unrolled: 8-line block ×3, first 2 shown]
	v_add_f64_e64 v[100:101], v[52:53], -v[28:29]
	s_mov_b32 s36, 0x24c2f84
	s_mov_b32 s37, 0x3fe5384d
	v_add_f64_e32 v[24:25], v[30:31], v[54:55]
	v_add_f64_e64 v[94:95], v[40:41], -v[44:45]
	s_mov_b32 s30, 0xd0032e0c
	s_mov_b32 s31, 0xbfe7f3cc
	;; [unrolled: 1-line block ×3, first 2 shown]
	s_wait_alu 0xfffe
	s_mov_b32 s34, s36
	v_add_f64_e64 v[36:37], v[56:57], -v[48:49]
	global_wb scope:SCOPE_SE
	s_wait_dscnt 0x0
	s_barrier_signal -1
	s_barrier_wait -1
	global_inv scope:SCOPE_SE
	v_mul_f64_e32 v[116:117], s[20:21], v[108:109]
	v_mul_f64_e32 v[112:113], s[12:13], v[108:109]
	;; [unrolled: 1-line block ×3, first 2 shown]
	s_mov_b32 s21, 0x3fddbe06
	v_mul_f64_e32 v[120:121], s[12:13], v[114:115]
	v_mul_f64_e32 v[122:123], s[18:19], v[114:115]
	;; [unrolled: 1-line block ×6, first 2 shown]
	s_mov_b32 s27, 0x3fefc445
	s_mov_b32 s26, s28
	v_mul_f64_e32 v[52:53], s[18:19], v[100:101]
	v_mul_f64_e32 v[96:97], s[36:37], v[100:101]
	s_wait_alu 0xfffe
	v_mul_f64_e32 v[98:99], s[20:21], v[100:101]
	v_mul_f64_e32 v[40:41], s[34:35], v[94:95]
	;; [unrolled: 1-line block ×4, first 2 shown]
	v_fma_f64 v[4:5], v[88:89], s[14:15], -v[116:117]
	v_fma_f64 v[12:13], v[88:89], s[2:3], -v[112:113]
	;; [unrolled: 1-line block ×12, first 2 shown]
	v_add_f64_e32 v[4:5], v[6:7], v[4:5]
	v_add_f64_e32 v[12:13], v[6:7], v[12:13]
	v_add_f64_e32 v[16:17], v[6:7], v[16:17]
	s_delay_alu instid0(VALU_DEP_3) | instskip(NEXT) | instid1(VALU_DEP_3)
	v_add_f64_e32 v[4:5], v[20:21], v[4:5]
	v_add_f64_e32 v[20:21], v[28:29], v[12:13]
	s_delay_alu instid0(VALU_DEP_3)
	v_add_f64_e32 v[16:17], v[32:33], v[16:17]
	v_add_f64_e32 v[12:13], v[46:47], v[42:43]
	v_mul_f64_e32 v[28:29], s[34:35], v[36:37]
	v_mul_f64_e32 v[32:33], s[20:21], v[36:37]
	v_add_f64_e32 v[4:5], v[60:61], v[4:5]
	v_add_f64_e32 v[60:61], v[62:63], v[20:21]
	;; [unrolled: 1-line block ×4, first 2 shown]
	v_mul_f64_e32 v[20:21], s[24:25], v[36:37]
	v_fma_f64 v[132:133], v[12:13], s[30:31], -v[40:41]
	v_fma_f64 v[138:139], v[12:13], s[6:7], -v[44:45]
	;; [unrolled: 1-line block ×3, first 2 shown]
	v_add_f64_e32 v[4:5], v[56:57], v[4:5]
	v_add_f64_e32 v[56:57], v[134:135], v[60:61]
	;; [unrolled: 1-line block ×3, first 2 shown]
	v_fma_f64 v[134:135], v[16:17], s[30:31], -v[28:29]
	v_fma_f64 v[62:63], v[16:17], s[22:23], -v[20:21]
	;; [unrolled: 1-line block ×3, first 2 shown]
	v_add_f64_e32 v[4:5], v[132:133], v[4:5]
	v_add_f64_e32 v[56:57], v[138:139], v[56:57]
	;; [unrolled: 1-line block ×3, first 2 shown]
	s_delay_alu instid0(VALU_DEP_3) | instskip(NEXT) | instid1(VALU_DEP_3)
	v_add_f64_e32 v[4:5], v[62:63], v[4:5]
	v_add_f64_e32 v[62:63], v[136:137], v[56:57]
	s_delay_alu instid0(VALU_DEP_3)
	v_add_f64_e32 v[60:61], v[134:135], v[60:61]
	s_and_saveexec_b32 s33, s1
	s_cbranch_execz .LBB0_18
; %bb.17:
	v_add_f64_e32 v[26:27], v[26:27], v[6:7]
	v_mul_f64_e32 v[56:57], s[24:25], v[108:109]
	v_mul_f64_e32 v[132:133], s[2:3], v[92:93]
	;; [unrolled: 1-line block ×8, first 2 shown]
	s_mov_b32 s25, 0x3fcea1e5
	s_mov_b32 s13, 0x3fea55e2
	v_mul_f64_e32 v[148:149], s[28:29], v[100:101]
	s_wait_alu 0xfffe
	v_mul_f64_e32 v[150:151], s[24:25], v[100:101]
	v_mul_f64_e32 v[100:101], s[12:13], v[100:101]
	v_add_f64_e32 v[26:27], v[34:35], v[26:27]
	v_mul_f64_e32 v[34:35], s[14:15], v[88:89]
	v_fma_f64 v[144:145], v[88:89], s[22:23], v[56:57]
	v_fma_f64 v[56:57], v[88:89], s[22:23], -v[56:57]
	v_add_f64_e32 v[120:121], v[132:133], v[120:121]
	v_add_f64_e32 v[122:123], v[134:135], v[122:123]
	;; [unrolled: 1-line block ×3, first 2 shown]
	v_fma_f64 v[132:133], v[92:93], s[30:31], v[138:139]
	v_fma_f64 v[134:135], v[92:93], s[30:31], -v[138:139]
	v_fma_f64 v[136:137], v[92:93], s[6:7], v[140:141]
	v_fma_f64 v[138:139], v[92:93], s[6:7], -v[140:141]
	;; [unrolled: 2-line block ×3, first 2 shown]
	v_add_f64_e32 v[26:27], v[38:39], v[26:27]
	v_mul_f64_e32 v[38:39], s[18:19], v[108:109]
	v_add_f64_e32 v[34:35], v[34:35], v[116:117]
	v_add_f64_e32 v[56:57], v[6:7], v[56:57]
	s_delay_alu instid0(VALU_DEP_4)
	v_add_f64_e32 v[26:27], v[54:55], v[26:27]
	v_mul_f64_e32 v[54:55], s[34:35], v[108:109]
	v_mul_f64_e32 v[108:109], s[2:3], v[88:89]
	v_fma_f64 v[116:117], v[88:89], s[16:17], v[38:39]
	v_fma_f64 v[38:39], v[88:89], s[16:17], -v[38:39]
	v_add_f64_e32 v[34:35], v[6:7], v[34:35]
	v_add_f64_e32 v[56:57], v[92:93], v[56:57]
	v_mul_f64_e32 v[92:93], s[6:7], v[12:13]
	v_add_f64_e32 v[26:27], v[42:43], v[26:27]
	v_mul_f64_e32 v[42:43], s[6:7], v[88:89]
	v_fma_f64 v[142:143], v[88:89], s[30:31], v[54:55]
	v_fma_f64 v[54:55], v[88:89], s[30:31], -v[54:55]
	v_add_f64_e32 v[88:89], v[108:109], v[112:113]
	v_mul_f64_e32 v[108:109], s[22:23], v[90:91]
	v_mul_f64_e32 v[112:113], s[20:21], v[118:119]
	v_add_f64_e32 v[114:115], v[6:7], v[116:117]
	v_add_f64_e32 v[38:39], v[6:7], v[38:39]
	v_mul_f64_e32 v[118:119], s[34:35], v[118:119]
	v_add_f64_e32 v[34:35], v[120:121], v[34:35]
	v_mul_f64_e32 v[120:121], s[2:3], v[12:13]
	v_add_f64_e32 v[44:45], v[92:93], v[44:45]
	v_add_f64_e32 v[26:27], v[58:59], v[26:27]
	;; [unrolled: 1-line block ×3, first 2 shown]
	v_mul_f64_e32 v[58:59], s[6:7], v[90:91]
	v_mul_f64_e32 v[110:111], s[16:17], v[90:91]
	v_add_f64_e32 v[116:117], v[6:7], v[142:143]
	v_add_f64_e32 v[142:143], v[6:7], v[144:145]
	;; [unrolled: 1-line block ×4, first 2 shown]
	v_mul_f64_e32 v[144:145], s[14:15], v[24:25]
	v_add_f64_e32 v[114:115], v[132:133], v[114:115]
	v_add_f64_e32 v[38:39], v[134:135], v[38:39]
	v_fma_f64 v[132:133], v[24:25], s[22:23], v[150:151]
	v_fma_f64 v[134:135], v[24:25], s[22:23], -v[150:151]
	v_add_f64_e32 v[26:27], v[50:51], v[26:27]
	v_add_f64_e32 v[6:7], v[6:7], v[42:43]
	v_mul_f64_e32 v[42:43], s[16:17], v[24:25]
	v_mul_f64_e32 v[50:51], s[30:31], v[24:25]
	v_add_f64_e32 v[58:59], v[58:59], v[102:103]
	v_add_f64_e32 v[102:103], v[108:109], v[104:105]
	;; [unrolled: 1-line block ×3, first 2 shown]
	v_fma_f64 v[106:107], v[90:91], s[14:15], v[112:113]
	v_fma_f64 v[108:109], v[90:91], s[14:15], -v[112:113]
	v_fma_f64 v[110:111], v[90:91], s[2:3], v[146:147]
	v_add_f64_e32 v[116:117], v[136:137], v[116:117]
	v_fma_f64 v[112:113], v[90:91], s[2:3], -v[146:147]
	v_fma_f64 v[146:147], v[90:91], s[30:31], v[118:119]
	v_fma_f64 v[90:91], v[90:91], s[30:31], -v[118:119]
	v_add_f64_e32 v[118:119], v[140:141], v[142:143]
	v_add_f64_e32 v[54:55], v[138:139], v[54:55]
	;; [unrolled: 1-line block ×3, first 2 shown]
	v_mul_f64_e32 v[122:123], s[20:21], v[94:95]
	v_fma_f64 v[136:137], v[24:25], s[2:3], v[100:101]
	v_add_f64_e32 v[26:27], v[46:47], v[26:27]
	v_add_f64_e32 v[6:7], v[124:125], v[6:7]
	v_mul_f64_e32 v[46:47], s[30:31], v[12:13]
	v_mul_f64_e32 v[124:125], s[18:19], v[94:95]
	;; [unrolled: 1-line block ×3, first 2 shown]
	v_add_f64_e32 v[42:43], v[42:43], v[52:53]
	v_add_f64_e32 v[50:51], v[50:51], v[96:97]
	;; [unrolled: 1-line block ×3, first 2 shown]
	v_fma_f64 v[96:97], v[24:25], s[6:7], v[148:149]
	v_fma_f64 v[98:99], v[24:25], s[6:7], -v[148:149]
	v_fma_f64 v[24:25], v[24:25], s[2:3], -v[100:101]
	v_add_f64_e32 v[34:35], v[58:59], v[34:35]
	v_add_f64_e32 v[58:59], v[106:107], v[114:115]
	;; [unrolled: 1-line block ×8, first 2 shown]
	v_mul_f64_e32 v[90:91], s[14:15], v[16:17]
	v_mul_f64_e32 v[108:109], s[26:27], v[36:37]
	v_fma_f64 v[92:93], v[12:13], s[14:15], -v[122:123]
	v_mul_f64_e32 v[102:103], s[30:31], v[16:17]
	v_add_f64_e32 v[26:27], v[30:31], v[26:27]
	v_add_f64_e32 v[6:7], v[104:105], v[6:7]
	v_mul_f64_e32 v[30:31], s[22:23], v[16:17]
	v_mul_f64_e32 v[104:105], s[18:19], v[36:37]
	;; [unrolled: 1-line block ×3, first 2 shown]
	v_add_f64_e32 v[40:41], v[46:47], v[40:41]
	v_add_f64_e32 v[46:47], v[120:121], v[48:49]
	v_fma_f64 v[48:49], v[12:13], s[14:15], v[122:123]
	v_fma_f64 v[110:111], v[12:13], s[16:17], v[124:125]
	v_fma_f64 v[112:113], v[12:13], s[16:17], -v[124:125]
	v_fma_f64 v[114:115], v[12:13], s[22:23], v[94:95]
	v_fma_f64 v[12:13], v[12:13], s[22:23], -v[94:95]
	v_add_f64_e32 v[34:35], v[42:43], v[34:35]
	v_add_f64_e32 v[42:43], v[96:97], v[58:59]
	;; [unrolled: 1-line block ×8, first 2 shown]
	v_fma_f64 v[56:57], v[16:17], s[6:7], -v[108:109]
	v_add_f64_e32 v[28:29], v[102:103], v[28:29]
	v_add_f64_e32 v[22:23], v[22:23], v[26:27]
	;; [unrolled: 1-line block ×5, first 2 shown]
	v_fma_f64 v[30:31], v[16:17], s[16:17], v[104:105]
	v_fma_f64 v[32:33], v[16:17], s[16:17], -v[104:105]
	v_fma_f64 v[52:53], v[16:17], s[6:7], v[108:109]
	v_fma_f64 v[88:89], v[16:17], s[2:3], v[36:37]
	v_fma_f64 v[16:17], v[16:17], s[2:3], -v[36:37]
	v_add_f64_e32 v[34:35], v[40:41], v[34:35]
	v_add_f64_e32 v[36:37], v[114:115], v[42:43]
	;; [unrolled: 1-line block ×20, first 2 shown]
	v_mul_u32_u24_e32 v18, 0x60, v127
	s_delay_alu instid0(VALU_DEP_1)
	v_add3_u32 v18, v131, v18, v129
	ds_store_2addr_b64 v18, v[22:23], v[16:17] offset0:4 offset1:5
	ds_store_2addr_b64 v18, v[30:31], v[24:25] offset0:6 offset1:7
	;; [unrolled: 1-line block ×4, first 2 shown]
	ds_store_2addr_b64 v18, v[14:15], v[20:21] offset1:1
	ds_store_2addr_b64 v18, v[26:27], v[6:7] offset0:2 offset1:3
	ds_store_b64 v18, v[4:5] offset:96
.LBB0_18:
	s_or_b32 exec_lo, exec_lo, s33
	v_add_nc_u32_e32 v6, 0x400, v130
	v_add_nc_u32_e32 v16, 0x800, v130
	;; [unrolled: 1-line block ×3, first 2 shown]
	global_wb scope:SCOPE_SE
	s_wait_dscnt 0x0
	s_barrier_signal -1
	s_barrier_wait -1
	global_inv scope:SCOPE_SE
	ds_load_2addr_b64 v[12:15], v130 offset0:65 offset1:143
	ds_load_2addr_b64 v[20:23], v6 offset0:80 offset1:158
	;; [unrolled: 1-line block ×4, first 2 shown]
	ds_load_b64 v[28:29], v128
	ds_load_b64 v[52:53], v130 offset:5096
                                        ; implicit-def: $vgpr30_vgpr31
	s_and_saveexec_b32 s1, s0
	s_cbranch_execz .LBB0_20
; %bb.19:
	ds_load_2addr_b64 v[60:63], v6 offset0:2 offset1:145
	ds_load_2addr_b64 v[4:7], v7 offset0:32 offset1:175
	ds_load_b64 v[30:31], v130 offset:5616
.LBB0_20:
	s_wait_alu 0xfffe
	s_or_b32 exec_lo, exec_lo, s1
	v_add_nc_u16 v32, v127, 0x41
	v_and_b32_e32 v33, 0xff, v127
	s_mov_b32 s2, 0x134454ff
	s_mov_b32 s3, 0x3fee6f0e
	;; [unrolled: 1-line block ×3, first 2 shown]
	v_and_b32_e32 v34, 0xff, v32
	v_mul_lo_u16 v33, 0x4f, v33
	s_wait_alu 0xfffe
	s_mov_b32 s6, s2
	s_mov_b32 s12, 0x4755a5e
	s_mov_b32 s13, 0x3fe2cf23
	v_mul_lo_u16 v34, 0x4f, v34
	v_lshrrev_b16 v137, 10, v33
	s_mov_b32 s15, 0xbfe2cf23
	s_wait_alu 0xfffe
	s_mov_b32 s14, s12
	s_mov_b32 s16, 0x372fe950
	v_lshrrev_b16 v138, 10, v34
	v_mul_lo_u16 v33, v137, 13
	s_mov_b32 s17, 0x3fd3c6ef
	s_delay_alu instid0(VALU_DEP_2) | instskip(NEXT) | instid1(VALU_DEP_2)
	v_mul_lo_u16 v34, v138, 13
	v_sub_nc_u16 v33, v127, v33
	s_delay_alu instid0(VALU_DEP_2) | instskip(NEXT) | instid1(VALU_DEP_2)
	v_sub_nc_u16 v32, v32, v34
	v_and_b32_e32 v139, 0xff, v33
	s_delay_alu instid0(VALU_DEP_2) | instskip(NEXT) | instid1(VALU_DEP_2)
	v_and_b32_e32 v140, 0xff, v32
	v_lshlrev_b32_e32 v36, 6, v139
	s_delay_alu instid0(VALU_DEP_2)
	v_lshlrev_b32_e32 v37, 6, v140
	s_clause 0x7
	global_load_b128 v[32:35], v36, s[4:5]
	global_load_b128 v[54:57], v36, s[4:5] offset:16
	global_load_b128 v[88:91], v36, s[4:5] offset:32
	global_load_b128 v[92:95], v36, s[4:5] offset:48
	global_load_b128 v[96:99], v37, s[4:5]
	global_load_b128 v[100:103], v37, s[4:5] offset:16
	global_load_b128 v[104:107], v37, s[4:5] offset:32
	global_load_b128 v[108:111], v37, s[4:5] offset:48
	v_add_nc_u16 v36, v127, 0x82
	s_delay_alu instid0(VALU_DEP_1) | instskip(NEXT) | instid1(VALU_DEP_1)
	v_and_b32_e32 v37, 0xff, v36
	v_mul_lo_u16 v37, 0x4f, v37
	s_delay_alu instid0(VALU_DEP_1) | instskip(NEXT) | instid1(VALU_DEP_1)
	v_lshrrev_b16 v37, 10, v37
	v_mul_lo_u16 v37, v37, 13
	s_delay_alu instid0(VALU_DEP_1) | instskip(NEXT) | instid1(VALU_DEP_1)
	v_sub_nc_u16 v36, v36, v37
	v_and_b32_e32 v141, 0xff, v36
	s_delay_alu instid0(VALU_DEP_1)
	v_lshlrev_b32_e32 v36, 6, v141
	s_clause 0x3
	global_load_b128 v[112:115], v36, s[4:5]
	global_load_b128 v[116:119], v36, s[4:5] offset:16
	global_load_b128 v[120:123], v36, s[4:5] offset:32
	;; [unrolled: 1-line block ×3, first 2 shown]
	global_wb scope:SCOPE_SE
	s_wait_loadcnt_dscnt 0x0
	s_barrier_signal -1
	s_barrier_wait -1
	global_inv scope:SCOPE_SE
	v_mul_f64_e32 v[36:37], v[14:15], v[34:35]
	v_mul_f64_e32 v[40:41], v[22:23], v[56:57]
	;; [unrolled: 1-line block ×16, first 2 shown]
	v_fma_f64 v[38:39], v[66:67], v[32:33], -v[36:37]
	v_fma_f64 v[40:41], v[70:71], v[54:55], -v[40:41]
	;; [unrolled: 1-line block ×8, first 2 shown]
	v_fma_f64 v[34:35], v[14:15], v[32:33], v[34:35]
	v_fma_f64 v[32:33], v[22:23], v[54:55], v[56:57]
	;; [unrolled: 1-line block ×8, first 2 shown]
	v_mul_f64_e32 v[102:103], v[62:63], v[114:115]
	v_mul_f64_e32 v[104:105], v[2:3], v[114:115]
	;; [unrolled: 1-line block ×7, first 2 shown]
	v_add_f64_e32 v[58:59], v[84:85], v[38:39]
	v_add_f64_e64 v[78:79], v[40:41], -v[38:39]
	v_add_f64_e32 v[26:27], v[40:41], v[46:47]
	v_add_f64_e32 v[52:53], v[38:39], v[48:49]
	;; [unrolled: 1-line block ×3, first 2 shown]
	v_add_f64_e64 v[76:77], v[48:49], -v[46:47]
	v_add_f64_e32 v[54:55], v[36:37], v[44:45]
	v_add_f64_e32 v[56:57], v[42:43], v[50:51]
	v_add_f64_e64 v[86:87], v[42:43], -v[36:37]
	v_add_f64_e64 v[88:89], v[50:51], -v[44:45]
	;; [unrolled: 1-line block ×8, first 2 shown]
	v_add_f64_e32 v[58:59], v[58:59], v[40:41]
	v_fma_f64 v[26:27], v[26:27], -0.5, v[84:85]
	v_fma_f64 v[52:53], v[52:53], -0.5, v[84:85]
	v_add_f64_e64 v[84:85], v[46:47], -v[48:49]
	v_add_f64_e32 v[70:71], v[70:71], v[36:37]
	v_fma_f64 v[54:55], v[54:55], -0.5, v[64:65]
	v_fma_f64 v[56:57], v[56:57], -0.5, v[64:65]
	v_add_f64_e64 v[64:65], v[38:39], -v[40:41]
	v_fma_f64 v[94:95], v[66:67], s[2:3], v[26:27]
	v_fma_f64 v[26:27], v[66:67], s[6:7], v[26:27]
	v_fma_f64 v[96:97], v[68:69], s[6:7], v[52:53]
	v_fma_f64 v[52:53], v[68:69], s[2:3], v[52:53]
	v_fma_f64 v[98:99], v[72:73], s[2:3], v[54:55]
	v_fma_f64 v[100:101], v[74:75], s[6:7], v[56:57]
	v_fma_f64 v[56:57], v[74:75], s[2:3], v[56:57]
	v_fma_f64 v[54:55], v[72:73], s[6:7], v[54:55]
	v_add_f64_e32 v[64:65], v[64:65], v[76:77]
	v_add_f64_e32 v[76:77], v[78:79], v[84:85]
	;; [unrolled: 1-line block ×6, first 2 shown]
	v_fma_f64 v[58:59], v[8:9], v[116:117], -v[106:107]
	v_fma_f64 v[88:89], v[68:69], s[12:13], v[94:95]
	s_wait_alu 0xfffe
	v_fma_f64 v[68:69], v[68:69], s[14:15], v[26:27]
	v_fma_f64 v[90:91], v[66:67], s[12:13], v[96:97]
	;; [unrolled: 1-line block ×4, first 2 shown]
	v_mul_f64_e32 v[98:99], v[82:83], v[133:134]
	v_fma_f64 v[96:97], v[72:73], s[12:13], v[100:101]
	v_fma_f64 v[72:73], v[72:73], s[14:15], v[56:57]
	;; [unrolled: 1-line block ×3, first 2 shown]
	v_fma_f64 v[56:57], v[2:3], v[112:113], -v[102:103]
	v_fma_f64 v[54:55], v[62:63], v[112:113], v[104:105]
	v_fma_f64 v[52:53], v[4:5], v[116:117], v[108:109]
	v_fma_f64 v[62:63], v[10:11], v[120:121], -v[110:111]
	v_fma_f64 v[26:27], v[6:7], v[120:121], v[114:115]
	v_fma_f64 v[66:67], v[82:83], v[131:132], -v[118:119]
	v_add_f64_e32 v[2:3], v[86:87], v[48:49]
	v_add_f64_e32 v[4:5], v[70:71], v[50:51]
	v_lshlrev_b32_e32 v70, 3, v139
	v_fma_f64 v[6:7], v[64:65], s[16:17], v[88:89]
	v_fma_f64 v[8:9], v[64:65], s[16:17], v[68:69]
	;; [unrolled: 1-line block ×9, first 2 shown]
	v_and_b32_e32 v68, 0xffff, v137
	v_and_b32_e32 v69, 0xffff, v138
	s_delay_alu instid0(VALU_DEP_2) | instskip(NEXT) | instid1(VALU_DEP_2)
	v_mad_u32_u24 v68, 0x208, v68, 0
	v_mad_u32_u24 v75, 0x208, v69, 0
	s_delay_alu instid0(VALU_DEP_2) | instskip(SKIP_2) | instid1(VALU_DEP_2)
	v_add3_u32 v69, v68, v70, v129
	v_lshlrev_b32_e32 v70, 3, v140
	v_lshlrev_b32_e32 v68, 3, v141
	v_add3_u32 v70, v75, v70, v129
	ds_store_2addr_b64 v69, v[2:3], v[6:7] offset1:13
	ds_store_2addr_b64 v69, v[10:11], v[64:65] offset0:26 offset1:39
	ds_store_b64 v69, v[8:9] offset:416
	ds_store_2addr_b64 v70, v[4:5], v[76:77] offset1:13
	ds_store_2addr_b64 v70, v[82:83], v[71:72] offset0:26 offset1:39
	ds_store_b64 v70, v[73:74] offset:416
	s_and_saveexec_b32 s1, s0
	s_cbranch_execz .LBB0_22
; %bb.21:
	v_add_f64_e32 v[2:3], v[56:57], v[66:67]
	v_add_f64_e32 v[4:5], v[58:59], v[62:63]
	v_add_f64_e64 v[8:9], v[54:55], -v[30:31]
	v_add_f64_e32 v[10:11], v[0:1], v[56:57]
	v_add_f64_e64 v[6:7], v[52:53], -v[26:27]
	v_add_f64_e64 v[64:65], v[62:63], -v[66:67]
	v_add_f64_e64 v[71:72], v[56:57], -v[58:59]
	v_add_f64_e64 v[73:74], v[66:67], -v[62:63]
	v_fma_f64 v[2:3], v[2:3], -0.5, v[0:1]
	v_fma_f64 v[0:1], v[4:5], -0.5, v[0:1]
	v_add_f64_e64 v[4:5], v[58:59], -v[56:57]
	v_add_f64_e32 v[10:11], v[10:11], v[58:59]
	s_delay_alu instid0(VALU_DEP_4) | instskip(NEXT) | instid1(VALU_DEP_4)
	v_fma_f64 v[75:76], v[6:7], s[2:3], v[2:3]
	v_fma_f64 v[77:78], v[8:9], s[2:3], v[0:1]
	;; [unrolled: 1-line block ×4, first 2 shown]
	v_add_f64_e32 v[4:5], v[4:5], v[64:65]
	v_add_f64_e32 v[64:65], v[71:72], v[73:74]
	;; [unrolled: 1-line block ×3, first 2 shown]
	v_fma_f64 v[71:72], v[8:9], s[14:15], v[75:76]
	v_fma_f64 v[73:74], v[6:7], s[12:13], v[77:78]
	;; [unrolled: 1-line block ×4, first 2 shown]
	v_add_f64_e32 v[6:7], v[10:11], v[66:67]
	v_fma_f64 v[8:9], v[4:5], s[16:17], v[71:72]
	v_fma_f64 v[10:11], v[64:65], s[16:17], v[73:74]
	;; [unrolled: 1-line block ×4, first 2 shown]
	v_add3_u32 v4, 0, v68, v129
	s_delay_alu instid0(VALU_DEP_1)
	v_add_nc_u32_e32 v5, 0x1000, v4
	ds_store_2addr_b64 v5, v[6:7], v[10:11] offset0:138 offset1:151
	ds_store_2addr_b64 v5, v[2:3], v[8:9] offset0:164 offset1:177
	ds_store_b64 v4, v[0:1] offset:5616
.LBB0_22:
	s_wait_alu 0xfffe
	s_or_b32 exec_lo, exec_lo, s1
	v_add_f64_e32 v[0:1], v[32:33], v[22:23]
	v_add_f64_e32 v[2:3], v[34:35], v[14:15]
	;; [unrolled: 1-line block ×5, first 2 shown]
	v_add_f64_e64 v[10:11], v[38:39], -v[48:49]
	v_add_f64_e64 v[38:39], v[40:41], -v[46:47]
	v_add_f64_e32 v[40:41], v[12:13], v[20:21]
	v_add_f64_e64 v[42:43], v[42:43], -v[50:51]
	v_add_f64_e64 v[46:47], v[20:21], -v[18:19]
	;; [unrolled: 1-line block ×5, first 2 shown]
	global_wb scope:SCOPE_SE
	s_wait_dscnt 0x0
	s_barrier_signal -1
	s_barrier_wait -1
	global_inv scope:SCOPE_SE
	v_fma_f64 v[0:1], v[0:1], -0.5, v[28:29]
	v_fma_f64 v[2:3], v[2:3], -0.5, v[28:29]
	;; [unrolled: 1-line block ×3, first 2 shown]
	v_add_f64_e64 v[28:29], v[36:37], -v[44:45]
	v_fma_f64 v[6:7], v[6:7], -0.5, v[12:13]
	v_add_f64_e64 v[12:13], v[34:35], -v[32:33]
	v_add_f64_e64 v[36:37], v[14:15], -v[22:23]
	;; [unrolled: 1-line block ×3, first 2 shown]
	v_add_f64_e32 v[8:9], v[8:9], v[32:33]
	v_add_f64_e32 v[18:19], v[40:41], v[18:19]
	v_add_f64_e64 v[44:45], v[22:23], -v[14:15]
	v_add_f64_e32 v[20:21], v[20:21], v[50:51]
	v_fma_f64 v[32:33], v[10:11], s[6:7], v[0:1]
	v_fma_f64 v[40:41], v[38:39], s[2:3], v[2:3]
	;; [unrolled: 1-line block ×8, first 2 shown]
	v_add_f64_e32 v[12:13], v[12:13], v[36:37]
	v_add_f64_e32 v[8:9], v[8:9], v[22:23]
	;; [unrolled: 1-line block ×5, first 2 shown]
	v_fma_f64 v[18:19], v[38:39], s[14:15], v[32:33]
	v_fma_f64 v[22:23], v[10:11], s[14:15], v[40:41]
	;; [unrolled: 1-line block ×8, first 2 shown]
	ds_load_b64 v[64:65], v128
	v_add_f64_e32 v[28:29], v[8:9], v[14:15]
	v_add_f64_e32 v[24:25], v[16:17], v[24:25]
	v_add_nc_u32_e32 v8, 0xc00, v130
	v_add_nc_u32_e32 v9, 0x1000, v130
	v_fma_f64 v[38:39], v[12:13], s[16:17], v[18:19]
	v_fma_f64 v[22:23], v[34:35], s[16:17], v[22:23]
	;; [unrolled: 1-line block ×8, first 2 shown]
	v_add_nc_u32_e32 v0, 0x400, v130
	v_add_nc_u32_e32 v1, 0x800, v130
	ds_load_2addr_b64 v[16:19], v130 offset0:65 offset1:130
	ds_load_2addr_b64 v[4:7], v0 offset0:67 offset1:132
	ds_load_2addr_b64 v[0:3], v1 offset0:69 offset1:134
	ds_load_2addr_b64 v[12:15], v8 offset0:71 offset1:136
	ds_load_2addr_b64 v[8:11], v9 offset0:73 offset1:138
	global_wb scope:SCOPE_SE
	s_wait_dscnt 0x0
	s_barrier_signal -1
	s_barrier_wait -1
	global_inv scope:SCOPE_SE
	ds_store_2addr_b64 v69, v[28:29], v[38:39] offset1:13
	ds_store_2addr_b64 v69, v[22:23], v[34:35] offset0:26 offset1:39
	ds_store_b64 v69, v[40:41] offset:416
	ds_store_2addr_b64 v70, v[24:25], v[42:43] offset1:13
	ds_store_2addr_b64 v70, v[32:33], v[20:21] offset0:26 offset1:39
	ds_store_b64 v70, v[36:37] offset:416
	s_and_saveexec_b32 s1, s0
	s_cbranch_execz .LBB0_24
; %bb.23:
	v_add_f64_e32 v[20:21], v[52:53], v[26:27]
	v_add_f64_e32 v[22:23], v[54:55], v[30:31]
	;; [unrolled: 1-line block ×3, first 2 shown]
	v_add_f64_e64 v[28:29], v[56:57], -v[66:67]
	v_add_f64_e64 v[32:33], v[58:59], -v[62:63]
	s_mov_b32 s2, 0x134454ff
	s_mov_b32 s3, 0xbfee6f0e
	;; [unrolled: 1-line block ×3, first 2 shown]
	s_wait_alu 0xfffe
	s_mov_b32 s6, s2
	v_add_f64_e64 v[34:35], v[54:55], -v[52:53]
	v_add_f64_e64 v[36:37], v[30:31], -v[26:27]
	;; [unrolled: 1-line block ×4, first 2 shown]
	v_fma_f64 v[20:21], v[20:21], -0.5, v[60:61]
	v_fma_f64 v[22:23], v[22:23], -0.5, v[60:61]
	v_add_f64_e32 v[24:25], v[24:25], v[52:53]
	v_add_f64_e32 v[34:35], v[34:35], v[36:37]
	;; [unrolled: 1-line block ×3, first 2 shown]
	v_fma_f64 v[42:43], v[28:29], s[2:3], v[20:21]
	s_wait_alu 0xfffe
	v_fma_f64 v[44:45], v[32:33], s[6:7], v[22:23]
	v_fma_f64 v[22:23], v[32:33], s[2:3], v[22:23]
	;; [unrolled: 1-line block ×3, first 2 shown]
	s_mov_b32 s2, 0x4755a5e
	s_mov_b32 s3, 0xbfe2cf23
	;; [unrolled: 1-line block ×3, first 2 shown]
	s_wait_alu 0xfffe
	s_mov_b32 s6, s2
	v_add_f64_e32 v[24:25], v[24:25], v[26:27]
	v_fma_f64 v[26:27], v[32:33], s[2:3], v[42:43]
	v_fma_f64 v[38:39], v[28:29], s[2:3], v[44:45]
	s_wait_alu 0xfffe
	v_fma_f64 v[22:23], v[28:29], s[6:7], v[22:23]
	v_fma_f64 v[20:21], v[32:33], s[6:7], v[20:21]
	s_mov_b32 s2, 0x372fe950
	s_mov_b32 s3, 0x3fd3c6ef
	v_add_f64_e32 v[24:25], v[24:25], v[30:31]
	v_add3_u32 v30, 0, v68, v129
	s_delay_alu instid0(VALU_DEP_1)
	v_add_nc_u32_e32 v31, 0x1000, v30
	s_wait_alu 0xfffe
	v_fma_f64 v[26:27], v[34:35], s[2:3], v[26:27]
	v_fma_f64 v[28:29], v[36:37], s[2:3], v[38:39]
	v_fma_f64 v[22:23], v[36:37], s[2:3], v[22:23]
	v_fma_f64 v[20:21], v[34:35], s[2:3], v[20:21]
	ds_store_2addr_b64 v31, v[24:25], v[26:27] offset0:138 offset1:151
	ds_store_2addr_b64 v31, v[28:29], v[22:23] offset0:164 offset1:177
	ds_store_b64 v30, v[20:21] offset:5616
.LBB0_24:
	s_wait_alu 0xfffe
	s_or_b32 exec_lo, exec_lo, s1
	global_wb scope:SCOPE_SE
	s_wait_dscnt 0x0
	s_barrier_signal -1
	s_barrier_wait -1
	global_inv scope:SCOPE_SE
	s_and_saveexec_b32 s0, vcc_lo
	s_cbranch_execz .LBB0_26
; %bb.25:
	v_add_nc_u32_e32 v134, 0x249, v126
	v_lshlrev_b64_e32 v[80:81], 4, v[80:81]
	v_mul_u32_u24_e32 v20, 10, v127
	v_add_nc_u32_e32 v82, 0x1c7, v126
	v_add_nc_u32_e32 v135, 0x28a, v126
	v_mad_co_u64_u32 v[113:114], null, s8, v134, 0
	v_add_nc_u32_e32 v79, 0x186, v126
	v_add_co_u32 v211, vcc_lo, s10, v80
	s_wait_alu 0xfffd
	v_add_co_ci_u32_e32 v212, vcc_lo, s11, v81, vcc_lo
	s_delay_alu instid0(VALU_DEP_3)
	v_mad_co_u64_u32 v[107:108], null, s8, v79, 0
	v_add_nc_u32_e32 v74, 0x41, v126
	v_mad_co_u64_u32 v[66:67], null, s8, v126, 0
	v_mad_co_u64_u32 v[109:110], null, s8, v82, 0
	v_add_nc_u32_e32 v75, 0x82, v126
	v_mov_b32_e32 v81, v108
	v_mad_co_u64_u32 v[97:98], null, s8, v74, 0
	v_lshlrev_b32_e32 v20, 4, v20
	s_clause 0x9
	global_load_b128 v[60:63], v20, s[4:5] offset:832
	global_load_b128 v[52:55], v20, s[4:5] offset:848
	;; [unrolled: 1-line block ×10, first 2 shown]
	ds_load_2addr_b64 v[56:59], v130 offset0:65 offset1:130
	ds_load_b64 v[68:69], v128
	v_mad_co_u64_u32 v[115:116], null, s8, v135, 0
	v_add_nc_u32_e32 v133, 0x208, v126
	v_add_nc_u32_e32 v78, 0x145, v126
	s_mov_b32 s20, 0x9bcd5057
	s_mov_b32 s22, 0xfd768dbf
	s_mov_b32 s14, 0x640f44db
	v_mad_co_u64_u32 v[111:112], null, s8, v133, 0
	v_add_nc_u32_e32 v77, 0x104, v126
	v_mad_co_u64_u32 v[105:106], null, s8, v78, 0
	v_add_nc_u32_e32 v73, 0x1000, v130
	s_mov_b32 s18, 0x43842ef
	s_mov_b32 s2, 0xd9c712b6
	s_mov_b32 s6, 0x8eee2c13
	s_mov_b32 s0, 0x7f775887
	s_mov_b32 s4, 0xbb3a28a1
	s_delay_alu instid0(VALU_DEP_2)
	v_mov_b32_e32 v80, v106
	s_mov_b32 s12, 0x8764f0ba
	s_mov_b32 s16, 0xf8bb580b
	;; [unrolled: 1-line block ×5, first 2 shown]
	s_wait_alu 0xfffe
	s_mov_b32 s30, s22
	s_mov_b32 s15, 0xbfc2375f
	s_mov_b32 s19, 0x3fefac9e
	s_mov_b32 s3, 0x3fda9628
	s_mov_b32 s7, 0xbfed1bb4
	s_mov_b32 s1, 0xbfe4f49e
	s_mov_b32 s5, 0x3fe82f19
	s_mov_b32 s13, 0x3feaeb8c
	s_mov_b32 s17, 0xbfe14ced
	s_mov_b32 s35, 0xbfefac9e
	s_mov_b32 s27, 0xbfe82f19
	s_mov_b32 s34, s18
	s_mov_b32 s26, s4
	s_mov_b32 s29, 0x3fe14ced
	s_mov_b32 s28, s16
	s_mov_b32 s25, 0x3fed1bb4
	s_mov_b32 s24, s6
	s_wait_loadcnt 0x9
	v_mul_f64_e32 v[95:96], v[16:17], v[62:63]
	s_wait_dscnt 0x1
	v_mul_f64_e32 v[62:63], v[56:57], v[62:63]
	s_wait_loadcnt 0x8
	v_mul_f64_e32 v[117:118], v[18:19], v[54:55]
	v_mul_f64_e32 v[54:55], v[58:59], v[54:55]
	s_wait_loadcnt 0x6
	v_mul_f64_e32 v[119:120], v[12:13], v[34:35]
	s_wait_loadcnt 0x5
	;; [unrolled: 2-line block ×5, first 2 shown]
	v_mul_f64_e32 v[131:132], v[2:3], v[22:23]
	v_fma_f64 v[56:57], v[56:57], v[60:61], v[95:96]
	v_fma_f64 v[16:17], v[16:17], v[60:61], -v[62:63]
	s_wait_dscnt 0x0
	v_mad_co_u64_u32 v[60:61], null, s9, v126, v[67:68]
	v_dual_mov_b32 v61, v98 :: v_dual_mov_b32 v98, v110
	v_mad_co_u64_u32 v[99:100], null, s8, v75, 0
	v_add_nc_u32_e32 v76, 0xc3, v126
	v_add_nc_u32_e32 v71, 0x400, v130
	v_fma_f64 v[58:59], v[58:59], v[52:53], v[117:118]
	v_fma_f64 v[18:19], v[18:19], v[52:53], -v[54:55]
	v_mul_f64_e32 v[95:96], v[6:7], v[38:39]
	v_mad_co_u64_u32 v[101:102], null, s8, v76, 0
	v_mov_b32_e32 v62, v100
	v_mov_b32_e32 v100, v112
	v_mad_co_u64_u32 v[103:104], null, s8, v77, 0
	v_add_nc_u32_e32 v72, 0xc00, v130
	v_dual_mov_b32 v63, v102 :: v_dual_add_nc_u32 v70, 0x800, v130
	v_mul_f64_e32 v[129:130], v[10:11], v[46:47]
	v_mad_co_u64_u32 v[125:126], null, s9, v74, v[61:62]
	v_mov_b32_e32 v67, v104
	ds_load_2addr_b64 v[83:86], v71 offset0:67 offset1:132
	ds_load_2addr_b64 v[87:90], v72 offset0:71 offset1:136
	;; [unrolled: 1-line block ×4, first 2 shown]
	v_mov_b32_e32 v104, v116
	v_mad_co_u64_u32 v[61:62], null, s9, v75, v[62:63]
	v_mul_f64_e32 v[74:75], v[0:1], v[26:27]
	v_mad_co_u64_u32 v[54:55], null, s9, v76, v[63:64]
	v_mad_co_u64_u32 v[62:63], null, s9, v77, v[67:68]
	;; [unrolled: 1-line block ×3, first 2 shown]
	v_mov_b32_e32 v102, v114
	v_add_f64_e32 v[116:117], v[68:69], v[56:57]
	v_add_f64_e32 v[52:53], v[64:65], v[16:17]
	v_mad_co_u64_u32 v[77:78], null, s9, v79, v[81:82]
	v_mov_b32_e32 v67, v60
	s_wait_dscnt 0x3
	v_mul_f64_e32 v[42:43], v[83:84], v[42:43]
	s_wait_dscnt 0x2
	v_mul_f64_e32 v[34:35], v[87:88], v[34:35]
	v_mul_f64_e32 v[30:31], v[89:90], v[30:31]
	;; [unrolled: 1-line block ×3, first 2 shown]
	s_wait_dscnt 0x1
	v_mul_f64_e32 v[46:47], v[93:94], v[46:47]
	s_wait_dscnt 0x0
	v_mul_f64_e32 v[26:27], v[70:71], v[26:27]
	v_fma_f64 v[83:84], v[83:84], v[40:41], v[121:122]
	v_mul_f64_e32 v[22:23], v[72:73], v[22:23]
	v_fma_f64 v[89:90], v[89:90], v[28:29], v[123:124]
	;; [unrolled: 2-line block ×3, first 2 shown]
	v_fma_f64 v[91:92], v[91:92], v[48:49], v[127:128]
	v_mov_b32_e32 v106, v76
	v_mov_b32_e32 v108, v77
	v_mad_co_u64_u32 v[78:79], null, s9, v82, v[98:99]
	v_mad_co_u64_u32 v[79:80], null, s9, v133, v[100:101]
	v_fma_f64 v[93:94], v[93:94], v[44:45], v[129:130]
	v_mad_co_u64_u32 v[80:81], null, s9, v134, v[102:103]
	v_fma_f64 v[87:88], v[87:88], v[32:33], v[119:120]
	v_mov_b32_e32 v98, v125
	v_mad_co_u64_u32 v[81:82], null, s9, v135, v[104:105]
	v_mov_b32_e32 v102, v54
	v_mov_b32_e32 v104, v62
	;; [unrolled: 1-line block ×6, first 2 shown]
	s_delay_alu instid0(VALU_DEP_4)
	v_lshlrev_b64_e32 v[54:55], 4, v[113:114]
	v_fma_f64 v[4:5], v[4:5], v[40:41], -v[42:43]
	v_fma_f64 v[12:13], v[12:13], v[32:33], -v[34:35]
	;; [unrolled: 1-line block ×3, first 2 shown]
	v_add_f64_e32 v[30:31], v[58:59], v[116:117]
	v_add_f64_e32 v[34:35], v[18:19], v[52:53]
	v_fma_f64 v[6:7], v[6:7], v[36:37], -v[38:39]
	v_fma_f64 v[28:29], v[10:11], v[44:45], -v[46:47]
	v_fma_f64 v[0:1], v[0:1], v[24:25], -v[26:27]
	v_lshlrev_b64_e32 v[36:37], 4, v[66:67]
	v_fma_f64 v[2:3], v[2:3], v[20:21], -v[22:23]
	v_add_f64_e32 v[22:23], v[83:84], v[89:90]
	v_fma_f64 v[8:9], v[8:9], v[48:49], -v[50:51]
	v_fma_f64 v[10:11], v[70:71], v[24:25], v[74:75]
	v_fma_f64 v[32:33], v[72:73], v[20:21], v[131:132]
	v_add_f64_e32 v[24:25], v[58:59], v[91:92]
	v_lshlrev_b64_e32 v[48:49], 4, v[107:108]
	v_add_f64_e64 v[58:59], v[58:59], -v[91:92]
	v_lshlrev_b64_e32 v[44:45], 4, v[103:104]
	v_add_f64_e32 v[26:27], v[56:57], v[93:94]
	v_add_f64_e64 v[56:57], v[56:57], -v[93:94]
	v_lshlrev_b64_e32 v[50:51], 4, v[109:110]
	v_mov_b32_e32 v116, v81
	v_lshlrev_b64_e32 v[38:39], 4, v[97:98]
	v_lshlrev_b64_e32 v[40:41], 4, v[99:100]
	;; [unrolled: 1-line block ×3, first 2 shown]
	v_add_f64_e64 v[74:75], v[83:84], -v[89:90]
	v_lshlrev_b64_e32 v[52:53], 4, v[111:112]
	v_add_f64_e32 v[20:21], v[85:86], v[87:88]
	v_add_f64_e64 v[78:79], v[85:86], -v[87:88]
	v_lshlrev_b64_e32 v[42:43], 4, v[101:102]
	v_lshlrev_b64_e32 v[60:61], 4, v[115:116]
	v_add_f64_e64 v[66:67], v[4:5], -v[14:15]
	v_add_f64_e32 v[76:77], v[4:5], v[14:15]
	v_add_f64_e32 v[30:31], v[83:84], v[30:31]
	;; [unrolled: 1-line block ×3, first 2 shown]
	v_add_f64_e64 v[72:73], v[16:17], -v[28:29]
	v_add_f64_e32 v[16:17], v[16:17], v[28:29]
	v_add_f64_e64 v[62:63], v[6:7], -v[12:13]
	v_add_f64_e64 v[97:98], v[0:1], -v[2:3]
	s_wait_alu 0xfffe
	v_mul_f64_e32 v[103:104], s[0:1], v[22:23]
	v_mul_f64_e32 v[109:110], s[12:13], v[22:23]
	;; [unrolled: 1-line block ×5, first 2 shown]
	v_add_f64_e64 v[70:71], v[18:19], -v[8:9]
	v_add_f64_e32 v[18:19], v[18:19], v[8:9]
	v_add_f64_e32 v[80:81], v[10:11], v[32:33]
	v_mul_f64_e32 v[107:108], s[20:21], v[26:27]
	v_mul_f64_e32 v[131:132], s[30:31], v[56:57]
	;; [unrolled: 1-line block ×10, first 2 shown]
	v_add_f64_e64 v[82:83], v[10:11], -v[32:33]
	v_add_f64_e32 v[99:100], v[0:1], v[2:3]
	v_mul_f64_e32 v[105:106], s[12:13], v[24:25]
	v_mul_f64_e32 v[139:140], s[28:29], v[58:59]
	;; [unrolled: 1-line block ×12, first 2 shown]
	v_add_f64_e32 v[30:31], v[85:86], v[30:31]
	v_add_f64_e32 v[4:5], v[6:7], v[4:5]
	v_mul_f64_e32 v[84:85], s[16:17], v[74:75]
	v_mul_f64_e32 v[151:152], s[22:23], v[74:75]
	;; [unrolled: 1-line block ×4, first 2 shown]
	v_fma_f64 v[173:174], v[66:67], s[4:5], v[103:104]
	v_fma_f64 v[103:104], v[66:67], s[26:27], v[103:104]
	;; [unrolled: 1-line block ×6, first 2 shown]
	v_add_f64_e32 v[95:96], v[6:7], v[12:13]
	v_mul_f64_e32 v[34:35], s[20:21], v[20:21]
	v_fma_f64 v[177:178], v[72:73], s[22:23], v[107:108]
	v_fma_f64 v[107:108], v[72:73], s[30:31], v[107:108]
	;; [unrolled: 1-line block ×4, first 2 shown]
	v_fma_f64 v[131:132], v[16:17], s[20:21], -v[131:132]
	v_fma_f64 v[199:200], v[72:73], s[16:17], v[26:27]
	v_fma_f64 v[113:114], v[72:73], s[26:27], v[113:114]
	;; [unrolled: 1-line block ×4, first 2 shown]
	v_fma_f64 v[201:202], v[16:17], s[12:13], -v[56:57]
	v_fma_f64 v[195:196], v[72:73], s[24:25], v[129:130]
	v_fma_f64 v[197:198], v[16:17], s[0:1], v[133:134]
	v_fma_f64 v[129:130], v[72:73], s[6:7], v[129:130]
	v_fma_f64 v[203:204], v[16:17], s[2:3], -v[137:138]
	v_fma_f64 v[133:134], v[16:17], s[0:1], -v[133:134]
	v_fma_f64 v[205:206], v[16:17], s[14:15], -v[135:136]
	v_fma_f64 v[137:138], v[16:17], s[2:3], v[137:138]
	v_fma_f64 v[26:27], v[72:73], s[28:29], v[26:27]
	;; [unrolled: 1-line block ×8, first 2 shown]
	v_add_f64_e32 v[10:11], v[10:11], v[30:31]
	v_add_f64_e32 v[0:1], v[0:1], v[4:5]
	v_fma_f64 v[30:31], v[66:67], s[30:31], v[125:126]
	v_fma_f64 v[125:126], v[66:67], s[22:23], v[125:126]
	;; [unrolled: 1-line block ×11, first 2 shown]
	v_fma_f64 v[70:71], v[18:19], s[12:13], -v[139:140]
	v_fma_f64 v[72:73], v[18:19], s[14:15], v[141:142]
	v_add_f64_e32 v[107:108], v[68:69], v[107:108]
	v_add_f64_e32 v[189:190], v[64:65], v[189:190]
	v_fma_f64 v[139:140], v[18:19], s[14:15], -v[141:142]
	v_fma_f64 v[141:142], v[18:19], s[20:21], v[143:144]
	v_fma_f64 v[143:144], v[18:19], s[20:21], -v[143:144]
	v_fma_f64 v[207:208], v[18:19], s[0:1], v[145:146]
	;; [unrolled: 2-line block ×3, first 2 shown]
	v_fma_f64 v[18:19], v[18:19], s[2:3], -v[58:59]
	v_add_f64_e32 v[131:132], v[64:65], v[131:132]
	v_add_f64_e32 v[183:184], v[68:69], v[183:184]
	;; [unrolled: 1-line block ×18, first 2 shown]
	v_fma_f64 v[58:59], v[76:77], s[0:1], v[147:148]
	v_mul_f64_e32 v[115:116], s[12:13], v[20:21]
	v_add_f64_e32 v[66:67], v[64:65], v[66:67]
	v_add_f64_e32 v[16:17], v[64:65], v[16:17]
	v_mul_f64_e32 v[123:124], s[14:15], v[20:21]
	v_mul_f64_e32 v[20:21], s[0:1], v[20:21]
	;; [unrolled: 1-line block ×7, first 2 shown]
	v_add_f64_e32 v[105:106], v[105:106], v[107:108]
	v_add_f64_e32 v[56:57], v[56:57], v[189:190]
	v_fma_f64 v[147:148], v[76:77], s[0:1], -v[147:148]
	v_fma_f64 v[2:3], v[76:77], s[2:3], v[149:150]
	v_fma_f64 v[64:65], v[76:77], s[2:3], -v[149:150]
	v_fma_f64 v[68:69], v[76:77], s[20:21], v[151:152]
	;; [unrolled: 2-line block ×3, first 2 shown]
	v_fma_f64 v[74:75], v[76:77], s[14:15], -v[74:75]
	v_add_f64_e32 v[70:71], v[70:71], v[131:132]
	v_add_f64_e32 v[181:182], v[181:182], v[183:184]
	;; [unrolled: 1-line block ×3, first 2 shown]
	v_fma_f64 v[32:33], v[76:77], s[12:13], v[84:85]
	v_add_f64_e32 v[72:73], v[72:73], v[197:198]
	v_add_f64_e32 v[111:112], v[111:112], v[113:114]
	;; [unrolled: 1-line block ×4, first 2 shown]
	v_fma_f64 v[84:85], v[76:77], s[12:13], -v[84:85]
	v_add_f64_e32 v[113:114], v[139:140], v[133:134]
	v_mul_f64_e32 v[6:7], s[14:15], v[80:81]
	v_add_f64_e32 v[175:176], v[175:176], v[177:178]
	v_add_f64_e32 v[127:128], v[187:188], v[191:192]
	;; [unrolled: 1-line block ×12, first 2 shown]
	v_fma_f64 v[177:178], v[62:63], s[6:7], v[101:102]
	v_fma_f64 v[101:102], v[62:63], s[24:25], v[101:102]
	v_mul_f64_e32 v[161:162], s[34:35], v[82:83]
	v_mul_f64_e32 v[163:164], s[2:3], v[80:81]
	;; [unrolled: 1-line block ×5, first 2 shown]
	v_add_f64_e32 v[56:57], v[58:59], v[56:57]
	v_add_f64_e32 v[58:59], v[103:104], v[105:106]
	v_mul_f64_e32 v[171:172], s[12:13], v[80:81]
	v_mul_f64_e32 v[76:77], s[28:29], v[82:83]
	;; [unrolled: 1-line block ×4, first 2 shown]
	v_fma_f64 v[189:190], v[62:63], s[22:23], v[34:35]
	v_fma_f64 v[34:35], v[62:63], s[30:31], v[34:35]
	v_fma_f64 v[107:108], v[62:63], s[28:29], v[115:116]
	v_fma_f64 v[115:116], v[62:63], s[16:17], v[115:116]
	v_fma_f64 v[131:132], v[62:63], s[34:35], v[123:124]
	v_fma_f64 v[123:124], v[62:63], s[18:19], v[123:124]
	v_fma_f64 v[135:136], v[62:63], s[4:5], v[20:21]
	v_fma_f64 v[20:21], v[62:63], s[26:27], v[20:21]
	v_fma_f64 v[62:63], v[95:96], s[2:3], v[153:154]
	v_fma_f64 v[137:138], v[95:96], s[2:3], -v[153:154]
	v_fma_f64 v[143:144], v[95:96], s[12:13], v[157:158]
	v_fma_f64 v[145:146], v[95:96], s[12:13], -v[157:158]
	v_fma_f64 v[157:158], v[95:96], s[0:1], v[78:79]
	v_fma_f64 v[78:79], v[95:96], s[0:1], -v[78:79]
	v_add_f64_e32 v[70:71], v[147:148], v[70:71]
	v_add_f64_e32 v[103:104], v[179:180], v[181:182]
	;; [unrolled: 1-line block ×6, first 2 shown]
	v_fma_f64 v[139:140], v[95:96], s[20:21], v[155:156]
	v_fma_f64 v[141:142], v[95:96], s[20:21], -v[155:156]
	v_fma_f64 v[155:156], v[95:96], s[14:15], -v[159:160]
	v_add_f64_e32 v[32:33], v[32:33], v[72:73]
	v_add_f64_e32 v[72:73], v[109:110], v[111:112]
	;; [unrolled: 1-line block ×10, first 2 shown]
	v_fma_f64 v[153:154], v[95:96], s[14:15], v[159:160]
	v_add_f64_e32 v[30:31], v[30:31], v[129:130]
	v_add_f64_e32 v[64:65], v[68:69], v[133:134]
	;; [unrolled: 1-line block ×5, first 2 shown]
	v_fma_f64 v[26:27], v[97:98], s[6:7], v[163:164]
	v_fma_f64 v[125:126], v[97:98], s[22:23], v[80:81]
	;; [unrolled: 1-line block ×4, first 2 shown]
	v_fma_f64 v[82:83], v[99:100], s[20:21], -v[82:83]
	v_fma_f64 v[159:160], v[99:100], s[14:15], v[161:162]
	v_fma_f64 v[161:162], v[99:100], s[14:15], -v[161:162]
	v_add_f64_e32 v[56:57], v[62:63], v[56:57]
	v_fma_f64 v[66:67], v[99:100], s[2:3], v[165:166]
	v_fma_f64 v[74:75], v[99:100], s[2:3], -v[165:166]
	v_fma_f64 v[88:89], v[99:100], s[0:1], v[169:170]
	v_fma_f64 v[113:114], v[99:100], s[0:1], -v[169:170]
	v_fma_f64 v[119:120], v[99:100], s[12:13], v[76:77]
	v_add_f64_e32 v[62:63], v[137:138], v[70:71]
	v_add_f64_e32 v[70:71], v[189:190], v[103:104]
	;; [unrolled: 1-line block ×6, first 2 shown]
	v_fma_f64 v[121:122], v[97:98], s[28:29], v[171:172]
	v_fma_f64 v[76:77], v[99:100], s[12:13], -v[76:77]
	v_fma_f64 v[111:112], v[97:98], s[26:27], v[167:168]
	v_fma_f64 v[68:69], v[97:98], s[24:25], v[163:164]
	v_add_f64_e32 v[34:35], v[34:35], v[72:73]
	v_add_f64_e32 v[99:100], v[123:124], v[109:110]
	;; [unrolled: 1-line block ×6, first 2 shown]
	v_fma_f64 v[95:96], v[97:98], s[18:19], v[6:7]
	v_fma_f64 v[6:7], v[97:98], s[34:35], v[6:7]
	v_fma_f64 v[86:87], v[97:98], s[4:5], v[167:168]
	v_fma_f64 v[117:118], v[97:98], s[16:17], v[171:172]
	v_add_f64_e32 v[97:98], v[177:178], v[173:174]
	v_add_f64_e32 v[32:33], v[139:140], v[32:33]
	;; [unrolled: 1-line block ×8, first 2 shown]
	v_add_co_u32 v131, vcc_lo, v211, v36
	s_wait_alu 0xfffd
	v_add_co_ci_u32_e32 v132, vcc_lo, v212, v37, vcc_lo
	v_add_co_u32 v133, vcc_lo, v211, v38
	s_wait_alu 0xfffd
	v_add_co_ci_u32_e32 v134, vcc_lo, v212, v39, vcc_lo
	v_add_co_u32 v135, vcc_lo, v211, v40
	v_add_f64_e32 v[4:5], v[161:162], v[62:63]
	v_add_f64_e32 v[10:11], v[26:27], v[70:71]
	;; [unrolled: 1-line block ×7, first 2 shown]
	s_wait_alu 0xfffd
	v_add_co_ci_u32_e32 v136, vcc_lo, v212, v41, vcc_lo
	v_add_co_u32 v137, vcc_lo, v211, v42
	v_add_f64_e32 v[22:23], v[121:122], v[99:100]
	v_add_f64_e32 v[20:21], v[76:77], v[103:104]
	v_add_f64_e32 v[14:15], v[68:69], v[34:35]
	v_add_f64_e32 v[18:19], v[111:112], v[84:85]
	v_add_f64_e32 v[16:17], v[113:114], v[105:106]
	v_add_f64_e32 v[12:13], v[74:75], v[72:73]
	v_add_f64_e32 v[6:7], v[6:7], v[58:59]
	s_wait_alu 0xfffd
	v_add_co_ci_u32_e32 v138, vcc_lo, v212, v43, vcc_lo
	v_add_f64_e32 v[2:3], v[95:96], v[97:98]
	v_add_f64_e32 v[8:9], v[66:67], v[32:33]
	;; [unrolled: 1-line block ×8, first 2 shown]
	v_add_co_u32 v44, vcc_lo, v211, v44
	s_wait_alu 0xfffd
	v_add_co_ci_u32_e32 v45, vcc_lo, v212, v45, vcc_lo
	v_add_co_u32 v46, vcc_lo, v211, v46
	s_wait_alu 0xfffd
	v_add_co_ci_u32_e32 v47, vcc_lo, v212, v47, vcc_lo
	;; [unrolled: 3-line block ×7, first 2 shown]
	s_clause 0xa
	global_store_b128 v[131:132], v[28:31], off
	global_store_b128 v[133:134], v[24:27], off
	;; [unrolled: 1-line block ×11, first 2 shown]
.LBB0_26:
	s_nop 0
	s_sendmsg sendmsg(MSG_DEALLOC_VGPRS)
	s_endpgm
	.section	.rodata,"a",@progbits
	.p2align	6, 0x0
	.amdhsa_kernel fft_rtc_fwd_len715_factors_13_5_11_wgs_195_tpt_65_halfLds_dp_ip_CI_sbrr_dirReg
		.amdhsa_group_segment_fixed_size 0
		.amdhsa_private_segment_fixed_size 0
		.amdhsa_kernarg_size 88
		.amdhsa_user_sgpr_count 2
		.amdhsa_user_sgpr_dispatch_ptr 0
		.amdhsa_user_sgpr_queue_ptr 0
		.amdhsa_user_sgpr_kernarg_segment_ptr 1
		.amdhsa_user_sgpr_dispatch_id 0
		.amdhsa_user_sgpr_private_segment_size 0
		.amdhsa_wavefront_size32 1
		.amdhsa_uses_dynamic_stack 0
		.amdhsa_enable_private_segment 0
		.amdhsa_system_sgpr_workgroup_id_x 1
		.amdhsa_system_sgpr_workgroup_id_y 0
		.amdhsa_system_sgpr_workgroup_id_z 0
		.amdhsa_system_sgpr_workgroup_info 0
		.amdhsa_system_vgpr_workitem_id 0
		.amdhsa_next_free_vgpr 213
		.amdhsa_next_free_sgpr 42
		.amdhsa_reserve_vcc 1
		.amdhsa_float_round_mode_32 0
		.amdhsa_float_round_mode_16_64 0
		.amdhsa_float_denorm_mode_32 3
		.amdhsa_float_denorm_mode_16_64 3
		.amdhsa_fp16_overflow 0
		.amdhsa_workgroup_processor_mode 1
		.amdhsa_memory_ordered 1
		.amdhsa_forward_progress 0
		.amdhsa_round_robin_scheduling 0
		.amdhsa_exception_fp_ieee_invalid_op 0
		.amdhsa_exception_fp_denorm_src 0
		.amdhsa_exception_fp_ieee_div_zero 0
		.amdhsa_exception_fp_ieee_overflow 0
		.amdhsa_exception_fp_ieee_underflow 0
		.amdhsa_exception_fp_ieee_inexact 0
		.amdhsa_exception_int_div_zero 0
	.end_amdhsa_kernel
	.text
.Lfunc_end0:
	.size	fft_rtc_fwd_len715_factors_13_5_11_wgs_195_tpt_65_halfLds_dp_ip_CI_sbrr_dirReg, .Lfunc_end0-fft_rtc_fwd_len715_factors_13_5_11_wgs_195_tpt_65_halfLds_dp_ip_CI_sbrr_dirReg
                                        ; -- End function
	.section	.AMDGPU.csdata,"",@progbits
; Kernel info:
; codeLenInByte = 11380
; NumSgprs: 44
; NumVgprs: 213
; ScratchSize: 0
; MemoryBound: 1
; FloatMode: 240
; IeeeMode: 1
; LDSByteSize: 0 bytes/workgroup (compile time only)
; SGPRBlocks: 5
; VGPRBlocks: 26
; NumSGPRsForWavesPerEU: 44
; NumVGPRsForWavesPerEU: 213
; Occupancy: 7
; WaveLimiterHint : 1
; COMPUTE_PGM_RSRC2:SCRATCH_EN: 0
; COMPUTE_PGM_RSRC2:USER_SGPR: 2
; COMPUTE_PGM_RSRC2:TRAP_HANDLER: 0
; COMPUTE_PGM_RSRC2:TGID_X_EN: 1
; COMPUTE_PGM_RSRC2:TGID_Y_EN: 0
; COMPUTE_PGM_RSRC2:TGID_Z_EN: 0
; COMPUTE_PGM_RSRC2:TIDIG_COMP_CNT: 0
	.text
	.p2alignl 7, 3214868480
	.fill 96, 4, 3214868480
	.type	__hip_cuid_3ae413efd1d5da06,@object ; @__hip_cuid_3ae413efd1d5da06
	.section	.bss,"aw",@nobits
	.globl	__hip_cuid_3ae413efd1d5da06
__hip_cuid_3ae413efd1d5da06:
	.byte	0                               ; 0x0
	.size	__hip_cuid_3ae413efd1d5da06, 1

	.ident	"AMD clang version 19.0.0git (https://github.com/RadeonOpenCompute/llvm-project roc-6.4.0 25133 c7fe45cf4b819c5991fe208aaa96edf142730f1d)"
	.section	".note.GNU-stack","",@progbits
	.addrsig
	.addrsig_sym __hip_cuid_3ae413efd1d5da06
	.amdgpu_metadata
---
amdhsa.kernels:
  - .args:
      - .actual_access:  read_only
        .address_space:  global
        .offset:         0
        .size:           8
        .value_kind:     global_buffer
      - .offset:         8
        .size:           8
        .value_kind:     by_value
      - .actual_access:  read_only
        .address_space:  global
        .offset:         16
        .size:           8
        .value_kind:     global_buffer
      - .actual_access:  read_only
        .address_space:  global
        .offset:         24
        .size:           8
        .value_kind:     global_buffer
      - .offset:         32
        .size:           8
        .value_kind:     by_value
      - .actual_access:  read_only
        .address_space:  global
        .offset:         40
        .size:           8
        .value_kind:     global_buffer
      - .actual_access:  read_only
        .address_space:  global
        .offset:         48
        .size:           8
        .value_kind:     global_buffer
      - .offset:         56
        .size:           4
        .value_kind:     by_value
      - .actual_access:  read_only
        .address_space:  global
        .offset:         64
        .size:           8
        .value_kind:     global_buffer
      - .actual_access:  read_only
        .address_space:  global
        .offset:         72
        .size:           8
        .value_kind:     global_buffer
      - .address_space:  global
        .offset:         80
        .size:           8
        .value_kind:     global_buffer
    .group_segment_fixed_size: 0
    .kernarg_segment_align: 8
    .kernarg_segment_size: 88
    .language:       OpenCL C
    .language_version:
      - 2
      - 0
    .max_flat_workgroup_size: 195
    .name:           fft_rtc_fwd_len715_factors_13_5_11_wgs_195_tpt_65_halfLds_dp_ip_CI_sbrr_dirReg
    .private_segment_fixed_size: 0
    .sgpr_count:     44
    .sgpr_spill_count: 0
    .symbol:         fft_rtc_fwd_len715_factors_13_5_11_wgs_195_tpt_65_halfLds_dp_ip_CI_sbrr_dirReg.kd
    .uniform_work_group_size: 1
    .uses_dynamic_stack: false
    .vgpr_count:     213
    .vgpr_spill_count: 0
    .wavefront_size: 32
    .workgroup_processor_mode: 1
amdhsa.target:   amdgcn-amd-amdhsa--gfx1201
amdhsa.version:
  - 1
  - 2
...

	.end_amdgpu_metadata
